;; amdgpu-corpus repo=ROCm/rocFFT kind=compiled arch=gfx1201 opt=O3
	.text
	.amdgcn_target "amdgcn-amd-amdhsa--gfx1201"
	.amdhsa_code_object_version 6
	.protected	bluestein_single_fwd_len2160_dim1_sp_op_CI_CI ; -- Begin function bluestein_single_fwd_len2160_dim1_sp_op_CI_CI
	.globl	bluestein_single_fwd_len2160_dim1_sp_op_CI_CI
	.p2align	8
	.type	bluestein_single_fwd_len2160_dim1_sp_op_CI_CI,@function
bluestein_single_fwd_len2160_dim1_sp_op_CI_CI: ; @bluestein_single_fwd_len2160_dim1_sp_op_CI_CI
; %bb.0:
	s_load_b128 s[12:15], s[0:1], 0x28
	v_mul_u32_u24_e32 v1, 0x445, v0
	s_mov_b32 s2, exec_lo
	v_mov_b32_e32 v10, 0
	s_delay_alu instid0(VALU_DEP_2) | instskip(NEXT) | instid1(VALU_DEP_1)
	v_lshrrev_b32_e32 v1, 16, v1
	v_add_nc_u32_e32 v9, ttmp9, v1
	s_wait_kmcnt 0x0
	s_delay_alu instid0(VALU_DEP_1)
	v_cmpx_gt_u64_e64 s[12:13], v[9:10]
	s_cbranch_execz .LBB0_15
; %bb.1:
	s_clause 0x1
	s_load_b128 s[4:7], s[0:1], 0x18
	s_load_b64 s[12:13], s[0:1], 0x0
	v_mul_lo_u16 v1, v1, 60
	s_movk_i32 s2, 0xf8a4
	s_mov_b32 s3, -1
	v_mov_b32_e32 v10, v9
	s_delay_alu instid0(VALU_DEP_2) | instskip(NEXT) | instid1(VALU_DEP_1)
	v_sub_nc_u16 v2, v0, v1
	v_and_b32_e32 v233, 0xffff, v2
	s_delay_alu instid0(VALU_DEP_1)
	v_or_b32_e32 v12, 0x6c0, v233
	v_or_b32_e32 v13, 0x300, v233
	v_lshlrev_b32_e32 v255, 3, v233
	s_wait_kmcnt 0x0
	s_load_b128 s[8:11], s[4:5], 0x0
	s_clause 0xd
	global_load_b64 v[109:110], v255, s[12:13] offset:1728
	global_load_b64 v[83:84], v255, s[12:13] offset:8640
	;; [unrolled: 1-line block ×4, first 2 shown]
	global_load_b64 v[135:136], v255, s[12:13]
	global_load_b64 v[133:134], v255, s[12:13] offset:480
	global_load_b64 v[103:104], v255, s[12:13] offset:2208
	;; [unrolled: 1-line block ×9, first 2 shown]
	s_clause 0x2
	scratch_store_b64 off, v[10:11], off offset:8
	scratch_store_b32 off, v13, off offset:20
	scratch_store_b32 off, v12, off offset:24
	s_wait_kmcnt 0x0
	v_mad_co_u64_u32 v[0:1], null, s10, v9, 0
	v_mad_co_u64_u32 v[3:4], null, s8, v233, 0
	;; [unrolled: 1-line block ×4, first 2 shown]
	s_delay_alu instid0(VALU_DEP_4) | instskip(SKIP_2) | instid1(VALU_DEP_3)
	v_mad_co_u64_u32 v[9:10], null, s11, v9, v[1:2]
	s_mul_u64 s[4:5], s[8:9], 0xd8
	s_mul_u64 s[2:3], s[8:9], s[2:3]
	v_mad_co_u64_u32 v[10:11], null, s9, v233, v[4:5]
	s_delay_alu instid0(VALU_DEP_3) | instskip(NEXT) | instid1(VALU_DEP_4)
	v_mad_co_u64_u32 v[11:12], null, s9, v12, v[6:7]
	v_mov_b32_e32 v1, v8
	s_lshl_b64 s[10:11], s[4:5], 3
	s_mul_i32 s4, s9, 0xd80
	s_lshl_b64 s[2:3], s[2:3], 3
	s_delay_alu instid0(VALU_DEP_3)
	v_mov_b32_e32 v4, v10
	s_clause 0x2
	global_load_b64 v[105:106], v255, s[12:13] offset:5184
	global_load_b64 v[99:100], v255, s[12:13] offset:5664
	;; [unrolled: 1-line block ×3, first 2 shown]
	v_mov_b32_e32 v6, v11
	v_mad_co_u64_u32 v[12:13], null, s9, v13, v[1:2]
	v_mov_b32_e32 v1, v9
	v_lshlrev_b64_e32 v[3:4], 3, v[3:4]
	s_delay_alu instid0(VALU_DEP_3) | instskip(NEXT) | instid1(VALU_DEP_3)
	v_mov_b32_e32 v8, v12
	v_lshlrev_b64_e32 v[0:1], 3, v[0:1]
	s_delay_alu instid0(VALU_DEP_1) | instskip(NEXT) | instid1(VALU_DEP_2)
	v_add_co_u32 v11, vcc_lo, s14, v0
	v_add_co_ci_u32_e32 v12, vcc_lo, s15, v1, vcc_lo
	v_lshlrev_b64_e32 v[0:1], 3, v[5:6]
	s_delay_alu instid0(VALU_DEP_3) | instskip(SKIP_1) | instid1(VALU_DEP_3)
	v_add_co_u32 v3, vcc_lo, v11, v3
	s_wait_alu 0xfffd
	v_add_co_ci_u32_e32 v4, vcc_lo, v12, v4, vcc_lo
	v_lshlrev_b64_e32 v[5:6], 3, v[7:8]
	s_wait_alu 0xfffe
	v_add_co_u32 v7, vcc_lo, v3, s10
	global_load_b64 v[13:14], v[3:4], off
	s_wait_alu 0xfffd
	v_add_co_ci_u32_e32 v8, vcc_lo, s11, v4, vcc_lo
	v_add_co_u32 v0, vcc_lo, v11, v0
	s_wait_alu 0xfffd
	v_add_co_ci_u32_e32 v1, vcc_lo, v12, v1, vcc_lo
	v_add_co_u32 v9, vcc_lo, v7, s10
	;; [unrolled: 3-line block ×3, first 2 shown]
	s_wait_alu 0xfffd
	v_add_co_ci_u32_e32 v6, vcc_lo, v12, v6, vcc_lo
	global_load_b64 v[19:20], v[7:8], off
	v_add_co_u32 v11, vcc_lo, v9, s10
	s_clause 0x1
	global_load_b64 v[17:18], v[5:6], off
	global_load_b64 v[15:16], v[0:1], off
	s_wait_alu 0xfffd
	v_add_co_ci_u32_e32 v12, vcc_lo, s11, v10, vcc_lo
	v_add_co_u32 v3, vcc_lo, v11, s10
	s_clause 0x1
	global_load_b64 v[87:88], v255, s[12:13] offset:12096
	global_load_b64 v[81:82], v255, s[12:13] offset:12576
	global_load_b64 v[21:22], v[9:10], off
	s_wait_alu 0xfffd
	v_add_co_ci_u32_e32 v4, vcc_lo, s11, v12, vcc_lo
	v_add_co_u32 v0, vcc_lo, v3, s10
	s_clause 0x1
	global_load_b64 v[125:126], v255, s[12:13] offset:14304
	global_load_b64 v[79:80], v255, s[12:13] offset:16032
	s_wait_alu 0xfffd
	v_add_co_ci_u32_e32 v1, vcc_lo, s11, v4, vcc_lo
	v_add_co_u32 v5, vcc_lo, v0, s10
	s_clause 0x1
	global_load_b64 v[11:12], v[11:12], off
	global_load_b64 v[23:24], v[3:4], off
	s_wait_alu 0xfffd
	v_add_co_ci_u32_e32 v6, vcc_lo, s11, v1, vcc_lo
	v_add_co_u32 v7, vcc_lo, v5, s10
	global_load_b64 v[25:26], v[0:1], off
	s_wait_alu 0xfffd
	v_add_co_ci_u32_e32 v8, vcc_lo, s11, v6, vcc_lo
	global_load_b64 v[27:28], v[5:6], off
	v_mad_co_u64_u32 v[9:10], null, 0xd80, s8, v[7:8]
	global_load_b64 v[29:30], v[7:8], off
	v_add_nc_u32_e32 v10, s4, v10
	v_add_co_u32 v0, vcc_lo, v9, s2
	s_wait_loadcnt 0xd
	v_mul_f32_e32 v71, v14, v136
	s_wait_alu 0xfffd
	v_add_co_ci_u32_e32 v1, vcc_lo, s3, v10, vcc_lo
	v_add_co_u32 v3, vcc_lo, v0, s10
	global_load_b64 v[31:32], v[9:10], off
	s_wait_alu 0xfffd
	v_add_co_ci_u32_e32 v4, vcc_lo, s11, v1, vcc_lo
	v_add_co_u32 v5, vcc_lo, v3, s10
	global_load_b64 v[33:34], v[0:1], off
	;; [unrolled: 4-line block ×10, first 2 shown]
	s_wait_alu 0xfffd
	v_add_co_ci_u32_e32 v6, vcc_lo, s3, v4, vcc_lo
	v_add_co_u32 v7, vcc_lo, v5, s10
	s_clause 0x1
	global_load_b64 v[115:116], v255, s[12:13] offset:960
	global_load_b64 v[113:114], v255, s[12:13] offset:2688
	global_load_b64 v[51:52], v[3:4], off
	s_wait_alu 0xfffd
	v_add_co_ci_u32_e32 v8, vcc_lo, s11, v6, vcc_lo
	v_add_co_u32 v0, vcc_lo, v7, s10
	global_load_b64 v[111:112], v255, s[12:13] offset:4416
	global_load_b64 v[53:54], v[5:6], off
	global_load_b64 v[107:108], v255, s[12:13] offset:7872
	global_load_b64 v[55:56], v[7:8], off
	s_clause 0x2
	global_load_b64 v[97:98], v255, s[12:13] offset:9600
	global_load_b64 v[91:92], v255, s[12:13] offset:13056
	;; [unrolled: 1-line block ×3, first 2 shown]
	s_wait_alu 0xfffd
	v_add_co_ci_u32_e32 v1, vcc_lo, s11, v8, vcc_lo
	v_add_nc_u32_e32 v10, 0x1400, v255
	s_wait_loadcnt 0x1e
	v_dual_mul_f32 v74, v15, v118 :: v_dual_add_nc_u32 v9, 0x2000, v255
	s_delay_alu instid0(VALU_DEP_3) | instskip(SKIP_4) | instid1(VALU_DEP_3)
	v_mad_co_u64_u32 v[3:4], null, 0xd80, s8, v[0:1]
	global_load_b64 v[57:58], v[0:1], off
	v_mul_f32_e32 v73, v16, v118
	v_fmac_f32_e32 v71, v13, v135
	v_dual_mul_f32 v76, v17, v90 :: v_dual_add_nc_u32 v5, 0x2800, v255
	v_dual_fmac_f32 v73, v15, v117 :: v_dual_add_nc_u32 v6, 0x1800, v255
	v_add_nc_u32_e32 v4, s4, v4
	v_add_co_u32 v0, vcc_lo, v3, s10
	v_add_nc_u32_e32 v7, 0x3400, v255
	s_wait_loadcnt 0x1c
	v_mul_f32_e32 v15, v22, v132
	s_wait_alu 0xfffd
	v_add_co_ci_u32_e32 v1, vcc_lo, s11, v4, vcc_lo
	global_load_b64 v[59:60], v[3:4], off
	v_add_co_u32 v3, vcc_lo, v0, s10
	s_wait_alu 0xfffd
	v_add_co_ci_u32_e32 v4, vcc_lo, s11, v1, vcc_lo
	global_load_b64 v[61:62], v[0:1], off
	v_add_co_u32 v0, vcc_lo, v3, s10
	;; [unrolled: 4-line block ×4, first 2 shown]
	s_wait_alu 0xfffd
	v_add_co_ci_u32_e32 v1, vcc_lo, s11, v4, vcc_lo
	global_load_b64 v[95:96], v255, s[12:13] offset:14784
	global_load_b64 v[67:68], v[3:4], off
	global_load_b64 v[93:94], v255, s[12:13] offset:16512
	global_load_b64 v[69:70], v[0:1], off
	v_add_co_u32 v3, s14, s12, v255
	s_wait_alu 0xf1ff
	v_add_co_ci_u32_e64 v4, null, s13, 0, s14
	s_load_b64 s[8:9], s[0:1], 0x38
	s_load_b128 s[4:7], s[6:7], 0x0
	v_dual_mul_f32 v72, v13, v136 :: v_dual_mul_f32 v13, v20, v110
	s_clause 0x2
	scratch_store_b64 off, v[3:4], off
	scratch_store_b64 off, v[89:90], off offset:76
	scratch_store_b64 off, v[105:106], off offset:140
	v_add_nc_u32_e32 v3, 0xc00, v255
	v_dual_mul_f32 v75, v18, v90 :: v_dual_add_nc_u32 v4, 0x800, v255
	v_fma_f32 v72, v14, v135, -v72
	v_mul_f32_e32 v14, v19, v110
	v_fma_f32 v74, v16, v117, -v74
	v_dual_fmac_f32 v13, v19, v109 :: v_dual_mul_f32 v16, v21, v132
	v_dual_fmac_f32 v75, v17, v89 :: v_dual_add_nc_u32 v8, 0x3000, v255
	v_fma_f32 v76, v18, v89, -v76
	s_wait_loadcnt 0x21
	v_mul_f32_e32 v17, v12, v106
	v_mul_f32_e32 v18, v11, v106
	v_fma_f32 v14, v20, v109, -v14
	s_wait_loadcnt 0x20
	v_dual_fmac_f32 v15, v21, v131 :: v_dual_mul_f32 v20, v23, v128
	v_mul_f32_e32 v19, v24, v128
	v_fma_f32 v16, v22, v131, -v16
	v_fma_f32 v18, v12, v105, -v18
	s_wait_loadcnt 0x1f
	v_dual_mul_f32 v12, v25, v84 :: v_dual_fmac_f32 v17, v11, v105
	v_fmac_f32_e32 v19, v23, v127
	v_fma_f32 v20, v24, v127, -v20
	v_mul_f32_e32 v11, v26, v84
	s_clause 0x4
	scratch_store_b64 off, v[117:118], off offset:188
	scratch_store_b64 off, v[127:128], off offset:228
	;; [unrolled: 1-line block ×5, first 2 shown]
	ds_store_b64 v255, v[13:14] offset:1728
	ds_store_b64 v255, v[15:16] offset:3456
	;; [unrolled: 1-line block ×4, first 2 shown]
	s_wait_loadcnt 0x1e
	v_mul_f32_e32 v13, v28, v124
	v_dual_mul_f32 v14, v27, v124 :: v_dual_fmac_f32 v11, v25, v83
	s_wait_loadcnt 0x1d
	v_mul_f32_e32 v15, v30, v88
	v_mul_f32_e32 v16, v29, v88
	v_fma_f32 v12, v26, v83, -v12
	v_fmac_f32_e32 v13, v27, v123
	v_fma_f32 v14, v28, v123, -v14
	s_clause 0x1
	scratch_store_b64 off, v[83:84], off offset:52
	scratch_store_b64 off, v[87:88], off offset:68
	v_fma_f32 v16, v30, v87, -v16
	s_clause 0x2
	scratch_store_b64 off, v[123:124], off offset:212
	scratch_store_b64 off, v[77:78], off offset:28
	;; [unrolled: 1-line block ×3, first 2 shown]
	v_cmp_gt_u16_e32 vcc_lo, 36, v2
	s_wait_loadcnt 0x1c
	v_mul_f32_e32 v17, v32, v78
	v_mul_f32_e32 v18, v31, v78
	s_wait_loadcnt 0x1b
	v_mul_f32_e32 v19, v34, v134
	v_mul_f32_e32 v20, v33, v134
	s_delay_alu instid0(VALU_DEP_3) | instskip(NEXT) | instid1(VALU_DEP_2)
	v_fma_f32 v18, v32, v77, -v18
	v_fma_f32 v20, v34, v133, -v20
	s_wait_loadcnt 0x14
	v_dual_mul_f32 v21, v46, v120 :: v_dual_mul_f32 v24, v47, v82
	v_fmac_f32_e32 v15, v29, v87
	ds_store_b64 v255, v[11:12] offset:8640
	ds_store_b64 v255, v[13:14] offset:10368
	;; [unrolled: 1-line block ×4, first 2 shown]
	v_mul_f32_e32 v12, v35, v104
	v_mul_f32_e32 v15, v40, v100
	;; [unrolled: 1-line block ×3, first 2 shown]
	v_fmac_f32_e32 v17, v31, v77
	v_mul_f32_e32 v11, v36, v104
	s_wait_loadcnt 0xe
	v_mul_f32_e32 v27, v54, v116
	v_mul_f32_e32 v28, v53, v116
	v_dual_mul_f32 v26, v51, v80 :: v_dual_fmac_f32 v19, v33, v133
	s_wait_loadcnt 0xc
	v_mul_f32_e32 v30, v55, v114
	v_mul_f32_e32 v29, v56, v114
	;; [unrolled: 1-line block ×3, first 2 shown]
	v_fmac_f32_e32 v15, v39, v99
	v_fma_f32 v16, v40, v99, -v16
	v_fmac_f32_e32 v27, v53, v115
	v_fma_f32 v28, v54, v115, -v28
	;; [unrolled: 2-line block ×3, first 2 shown]
	v_dual_mul_f32 v14, v37, v130 :: v_dual_fmac_f32 v29, v55, v113
	v_fma_f32 v30, v56, v113, -v30
	s_wait_loadcnt 0x8
	v_mul_f32_e32 v31, v58, v112
	v_mul_f32_e32 v32, v57, v112
	ds_store_b64 v255, v[17:18] offset:15552
	ds_store_2addr_b64 v255, v[71:72], v[19:20] offset1:60
	s_clause 0x1
	scratch_store_b64 off, v[103:104], off offset:132
	scratch_store_b64 off, v[113:114], off offset:172
	v_fmac_f32_e32 v13, v37, v129
	v_mul_f32_e32 v17, v42, v122
	v_mul_f32_e32 v18, v41, v122
	s_clause 0x6
	scratch_store_b64 off, v[99:100], off offset:116
	scratch_store_b64 off, v[85:86], off offset:60
	scratch_store_b64 off, v[81:82], off offset:44
	scratch_store_b64 off, v[79:80], off offset:36
	scratch_store_b64 off, v[121:122], off offset:204
	scratch_store_b64 off, v[125:126], off offset:220
	scratch_store_b64 off, v[129:130], off offset:236
	ds_store_2addr_b64 v10, v[15:16], v[75:76] offset0:68 offset1:128
	s_clause 0x1
	scratch_store_b64 off, v[119:120], off offset:196
	scratch_store_b64 off, v[115:116], off offset:180
	ds_store_b64 v255, v[27:28] offset:960
	ds_store_2addr_b64 v4, v[11:12], v[29:30] offset0:20 offset1:80
	s_wait_loadcnt 0x7
	v_mul_f32_e32 v11, v60, v108
	v_mul_f32_e32 v12, v59, v108
	v_fma_f32 v14, v38, v129, -v14
	v_fmac_f32_e32 v31, v57, v111
	v_fma_f32 v32, v58, v111, -v32
	v_mul_f32_e32 v19, v44, v86
	v_mul_f32_e32 v20, v43, v86
	s_wait_loadcnt 0x6
	v_mul_f32_e32 v27, v62, v98
	v_mul_f32_e32 v28, v61, v98
	v_fmac_f32_e32 v17, v41, v121
	v_fma_f32 v18, v42, v121, -v18
	v_fmac_f32_e32 v11, v59, v107
	v_fma_f32 v12, v60, v107, -v12
	ds_store_2addr_b64 v3, v[13:14], v[31:32] offset0:108 offset1:168
	s_wait_loadcnt 0x5
	v_mul_f32_e32 v3, v63, v102
	v_fmac_f32_e32 v19, v43, v85
	v_fma_f32 v20, v44, v85, -v20
	v_fmac_f32_e32 v27, v61, v97
	v_fma_f32 v28, v62, v97, -v28
	v_mul_f32_e32 v16, v45, v120
	v_mul_f32_e32 v25, v49, v126
	;; [unrolled: 1-line block ×3, first 2 shown]
	ds_store_2addr_b64 v6, v[17:18], v[11:12] offset0:156 offset1:216
	s_wait_loadcnt 0x2
	v_mul_f32_e32 v11, v67, v96
	v_mul_f32_e32 v15, v48, v82
	;; [unrolled: 1-line block ×3, first 2 shown]
	v_fma_f32 v14, v64, v101, -v3
	v_mul_f32_e32 v3, v65, v92
	v_mul_f32_e32 v23, v50, v126
	ds_store_2addr_b64 v9, v[19:20], v[27:28] offset0:116 offset1:176
	v_mul_f32_e32 v19, v68, v96
	v_fma_f32 v22, v46, v119, -v16
	v_fma_f32 v16, v48, v81, -v24
	;; [unrolled: 1-line block ×3, first 2 shown]
	v_mul_f32_e32 v25, v52, v80
	s_wait_loadcnt 0x0
	v_mul_f32_e32 v27, v70, v94
	v_mul_f32_e32 v12, v69, v94
	v_fmac_f32_e32 v21, v45, v119
	v_fmac_f32_e32 v13, v63, v101
	v_fma_f32 v20, v68, v95, -v11
	v_add_nc_u32_e32 v11, 0x3c00, v255
	v_fmac_f32_e32 v15, v47, v81
	v_fmac_f32_e32 v17, v65, v91
	v_fma_f32 v18, v66, v91, -v3
	v_fmac_f32_e32 v23, v49, v125
	v_fmac_f32_e32 v19, v67, v95
	;; [unrolled: 1-line block ×3, first 2 shown]
	v_fma_f32 v26, v52, v79, -v26
	v_fmac_f32_e32 v27, v69, v93
	v_fma_f32 v28, v70, v93, -v12
	s_clause 0x6
	scratch_store_b64 off, v[111:112], off offset:164
	scratch_store_b64 off, v[107:108], off offset:148
	;; [unrolled: 1-line block ×7, first 2 shown]
	ds_store_2addr_b64 v5, v[21:22], v[13:14] offset0:76 offset1:136
	ds_store_2addr_b64 v8, v[15:16], v[17:18] offset0:36 offset1:96
	;; [unrolled: 1-line block ×4, first 2 shown]
	s_and_saveexec_b32 s14, vcc_lo
	s_cbranch_execz .LBB0_3
; %bb.2:
	v_add_co_u32 v0, s2, v0, s2
	s_wait_alu 0xf1ff
	v_add_co_ci_u32_e64 v1, s2, s3, v1, s2
	s_delay_alu instid0(VALU_DEP_2) | instskip(SKIP_1) | instid1(VALU_DEP_2)
	v_add_co_u32 v2, s2, v0, s10
	s_wait_alu 0xf1ff
	v_add_co_ci_u32_e64 v3, s2, s11, v1, s2
	s_delay_alu instid0(VALU_DEP_2) | instskip(SKIP_1) | instid1(VALU_DEP_2)
	;; [unrolled: 4-line block ×3, first 2 shown]
	v_add_co_u32 v14, s2, v12, s10
	s_wait_alu 0xf1ff
	v_add_co_ci_u32_e64 v15, s2, s11, v13, s2
	global_load_b64 v[0:1], v[0:1], off
	global_load_b64 v[2:3], v[2:3], off
	;; [unrolled: 1-line block ×4, first 2 shown]
	scratch_load_b64 v[46:47], off, off     ; 8-byte Folded Reload
	v_add_co_u32 v14, s2, v14, s10
	s_wait_alu 0xf1ff
	v_add_co_ci_u32_e64 v15, s2, s11, v15, s2
	s_wait_loadcnt 0x0
	s_clause 0x3
	global_load_b64 v[18:19], v[46:47], off offset:1440
	global_load_b64 v[20:21], v[46:47], off offset:3168
	;; [unrolled: 1-line block ×4, first 2 shown]
	v_add_co_u32 v26, s2, v14, s10
	s_wait_alu 0xf1ff
	v_add_co_ci_u32_e64 v27, s2, s11, v15, s2
	global_load_b64 v[14:15], v[14:15], off
	v_add_co_u32 v28, s2, v26, s10
	s_wait_alu 0xf1ff
	v_add_co_ci_u32_e64 v29, s2, s11, v27, s2
	global_load_b64 v[30:31], v[46:47], off offset:8352
	v_add_co_u32 v32, s2, v28, s10
	s_wait_alu 0xf1ff
	v_add_co_ci_u32_e64 v33, s2, s11, v29, s2
	global_load_b64 v[26:27], v[26:27], off
	global_load_b64 v[28:29], v[28:29], off
	s_clause 0x1
	global_load_b64 v[34:35], v[46:47], off offset:10080
	global_load_b64 v[36:37], v[46:47], off offset:11808
	global_load_b64 v[38:39], v[32:33], off
	v_add_co_u32 v32, s2, v32, s10
	s_wait_alu 0xf1ff
	v_add_co_ci_u32_e64 v33, s2, s11, v33, s2
	global_load_b64 v[40:41], v[46:47], off offset:13536
	v_add_co_u32 v42, s2, v32, s10
	s_wait_alu 0xf1ff
	v_add_co_ci_u32_e64 v43, s2, s11, v33, s2
	global_load_b64 v[32:33], v[32:33], off
	s_clause 0x1
	global_load_b64 v[44:45], v[46:47], off offset:15264
	global_load_b64 v[46:47], v[46:47], off offset:16992
	global_load_b64 v[42:43], v[42:43], off
	v_add_nc_u32_e32 v50, 0x1200, v255
	s_wait_loadcnt 0xf
	v_mul_f32_e32 v48, v1, v19
	v_mul_f32_e32 v49, v0, v19
	s_wait_loadcnt 0xe
	v_mul_f32_e32 v19, v3, v21
	v_mul_f32_e32 v21, v2, v21
	v_dual_fmac_f32 v48, v0, v18 :: v_dual_add_nc_u32 v7, 0x500, v255
	s_wait_loadcnt 0xd
	s_delay_alu instid0(VALU_DEP_3)
	v_dual_mul_f32 v0, v13, v23 :: v_dual_fmac_f32 v19, v2, v20
	v_add_nc_u32_e32 v51, 0x2e00, v255
	v_fma_f32 v20, v3, v20, -v21
	s_wait_loadcnt 0xc
	v_mul_f32_e32 v2, v17, v25
	v_fmac_f32_e32 v0, v12, v22
	v_fma_f32 v49, v1, v18, -v49
	v_mul_f32_e32 v1, v12, v23
	s_wait_loadcnt 0xa
	v_dual_mul_f32 v3, v16, v25 :: v_dual_mul_f32 v12, v15, v31
	v_fmac_f32_e32 v2, v16, v24
	s_wait_loadcnt 0x6
	v_mul_f32_e32 v16, v29, v37
	s_delay_alu instid0(VALU_DEP_3)
	v_fma_f32 v3, v17, v24, -v3
	v_fmac_f32_e32 v12, v14, v30
	v_fma_f32 v1, v13, v22, -v1
	v_mul_f32_e32 v13, v14, v31
	v_dual_mul_f32 v14, v27, v35 :: v_dual_mul_f32 v17, v28, v37
	s_wait_loadcnt 0x4
	v_mul_f32_e32 v21, v39, v41
	v_mul_f32_e32 v18, v38, v41
	v_fma_f32 v13, v15, v30, -v13
	s_wait_loadcnt 0x0
	v_mul_f32_e32 v25, v43, v47
	v_mul_f32_e32 v15, v26, v35
	v_fmac_f32_e32 v14, v26, v34
	v_dual_fmac_f32 v16, v28, v36 :: v_dual_mul_f32 v23, v33, v45
	v_dual_fmac_f32 v21, v38, v40 :: v_dual_mul_f32 v24, v32, v45
	v_mul_f32_e32 v26, v42, v47
	v_fma_f32 v15, v27, v34, -v15
	s_delay_alu instid0(VALU_DEP_4)
	v_fmac_f32_e32 v23, v32, v44
	v_fma_f32 v17, v29, v36, -v17
	v_fma_f32 v22, v39, v40, -v18
	;; [unrolled: 1-line block ×3, first 2 shown]
	v_dual_fmac_f32 v25, v42, v46 :: v_dual_add_nc_u32 v18, 0x3b00, v255
	v_fma_f32 v26, v43, v46, -v26
	ds_store_2addr_b64 v7, v[48:49], v[19:20] offset0:20 offset1:236
	ds_store_2addr_b64 v50, v[0:1], v[2:3] offset0:36 offset1:252
	;; [unrolled: 1-line block ×5, first 2 shown]
.LBB0_3:
	s_wait_alu 0xfffe
	s_or_b32 exec_lo, exec_lo, s14
	v_add_nc_u32_e32 v7, 0x1000, v255
	v_add_nc_u32_e32 v12, 0x1c00, v255
	global_wb scope:SCOPE_SE
	s_wait_storecnt_dscnt 0x0
	s_wait_kmcnt 0x0
	s_barrier_signal -1
	s_barrier_wait -1
	global_inv scope:SCOPE_SE
	ds_load_2addr_b64 v[80:83], v255 offset1:60
	ds_load_2addr_b64 v[0:3], v255 offset0:120 offset1:216
	ds_load_2addr_b64 v[84:87], v4 offset0:176 offset1:236
	ds_load_2addr_b64 v[64:67], v7 offset0:40 offset1:136
	ds_load_2addr_b64 v[88:91], v6 offset0:96 offset1:156
	v_add_nc_u32_e32 v6, 0x3800, v255
	ds_load_2addr_b64 v[68:71], v12 offset0:88 offset1:184
	ds_load_2addr_b64 v[92:95], v5 offset0:16 offset1:76
	;; [unrolled: 1-line block ×10, first 2 shown]
	s_load_b64 s[0:1], s[0:1], 0x8
                                        ; implicit-def: $vgpr8
                                        ; implicit-def: $vgpr12
                                        ; implicit-def: $vgpr16
                                        ; implicit-def: $vgpr20
                                        ; implicit-def: $vgpr24
	s_and_saveexec_b32 s2, vcc_lo
	s_cbranch_execz .LBB0_5
; %bb.4:
	v_add_nc_u32_e32 v8, 0x500, v255
	v_add_nc_u32_e32 v12, 0x1200, v255
	;; [unrolled: 1-line block ×5, first 2 shown]
	ds_load_2addr_b64 v[8:11], v8 offset0:20 offset1:236
	ds_load_2addr_b64 v[12:15], v12 offset0:36 offset1:252
	ds_load_2addr_b64 v[16:19], v16 offset0:20 offset1:236
	ds_load_2addr_b64 v[20:23], v20 offset0:4 offset1:220
	ds_load_2addr_b64 v[24:27], v24 offset0:20 offset1:236
.LBB0_5:
	s_wait_alu 0xfffe
	s_or_b32 exec_lo, exec_lo, s2
	s_wait_dscnt 0x6
	v_dual_add_f32 v41, v80, v84 :: v_dual_sub_f32 v42, v85, v97
	v_dual_sub_f32 v49, v84, v88 :: v_dual_add_f32 v54, v89, v93
	v_sub_f32_e32 v50, v96, v92
	v_add_f32_e32 v40, v88, v92
	v_add_co_u32 v148, s2, v233, 60
	v_add_f32_e32 v51, v84, v96
	s_delay_alu instid0(VALU_DEP_4) | instskip(NEXT) | instid1(VALU_DEP_4)
	v_add_f32_e32 v49, v49, v50
	v_fma_f32 v43, -0.5, v40, v80
	s_wait_alu 0xf1ff
	v_add_co_ci_u32_e64 v40, null, 0, 0, s2
	v_sub_f32_e32 v40, v89, v93
	s_delay_alu instid0(VALU_DEP_3) | instskip(SKIP_3) | instid1(VALU_DEP_4)
	v_dual_add_f32 v41, v41, v88 :: v_dual_fmamk_f32 v48, v42, 0x3f737871, v43
	v_fma_f32 v51, -0.5, v51, v80
	v_fmac_f32_e32 v43, 0xbf737871, v42
	v_dual_add_f32 v53, v81, v85 :: v_dual_sub_f32 v52, v92, v96
	v_fmac_f32_e32 v48, 0x3f167918, v40
	v_add_f32_e32 v41, v41, v92
	s_delay_alu instid0(VALU_DEP_4)
	v_fmac_f32_e32 v43, 0xbf167918, v40
	v_fma_f32 v63, -0.5, v54, v81
	v_add_co_u32 v100, null, 0x78, v233
	v_fmac_f32_e32 v48, 0x3e9e377a, v49
	v_add_f32_e32 v50, v41, v96
	v_sub_f32_e32 v41, v88, v84
	v_fmamk_f32 v60, v40, 0xbf737871, v51
	v_dual_fmac_f32 v51, 0x3f737871, v40 :: v_dual_add_f32 v40, v53, v89
	v_fmac_f32_e32 v43, 0x3e9e377a, v49
	v_sub_f32_e32 v53, v88, v92
	v_sub_f32_e32 v55, v97, v93
	v_add_co_u32 v101, null, 0xb4, v233
	v_dual_add_f32 v40, v40, v93 :: v_dual_fmac_f32 v51, 0xbf167918, v42
	v_dual_add_f32 v41, v41, v52 :: v_dual_fmac_f32 v60, 0x3f167918, v42
	v_sub_f32_e32 v52, v84, v96
	v_add_f32_e32 v42, v85, v97
	v_sub_f32_e32 v54, v85, v89
	global_wb scope:SCOPE_SE
	s_wait_dscnt 0x0
	v_fmac_f32_e32 v60, 0x3e9e377a, v41
	v_fmamk_f32 v49, v52, 0xbf737871, v63
	v_fma_f32 v61, -0.5, v42, v81
	v_dual_add_f32 v80, v40, v97 :: v_dual_fmac_f32 v63, 0x3f737871, v52
	v_dual_fmac_f32 v51, 0x3e9e377a, v41 :: v_dual_add_f32 v40, v54, v55
	s_delay_alu instid0(VALU_DEP_4) | instskip(SKIP_3) | instid1(VALU_DEP_4)
	v_dual_fmac_f32 v49, 0xbf167918, v53 :: v_dual_add_f32 v54, v2, v66
	v_sub_f32_e32 v41, v89, v85
	v_sub_f32_e32 v42, v93, v97
	v_fmamk_f32 v81, v53, 0x3f737871, v61
	v_dual_fmac_f32 v49, 0x3e9e377a, v40 :: v_dual_sub_f32 v56, v70, v66
	s_wait_kmcnt 0x0
	s_barrier_signal -1
	v_add_f32_e32 v41, v41, v42
	v_dual_add_f32 v42, v54, v70 :: v_dual_fmac_f32 v63, 0x3f167918, v53
	v_dual_fmac_f32 v81, 0xbf167918, v52 :: v_dual_sub_f32 v54, v78, v74
	s_barrier_wait -1
	global_inv scope:SCOPE_SE
	v_dual_fmac_f32 v63, 0x3e9e377a, v40 :: v_dual_add_f32 v40, v42, v74
	v_dual_fmac_f32 v61, 0xbf737871, v53 :: v_dual_sub_f32 v58, v71, v67
	v_sub_f32_e32 v84, v99, v95
	v_sub_f32_e32 v88, v32, v28
	s_delay_alu instid0(VALU_DEP_3) | instskip(SKIP_3) | instid1(VALU_DEP_2)
	v_dual_add_f32 v62, v40, v78 :: v_dual_fmac_f32 v61, 0x3f167918, v52
	v_add_f32_e32 v52, v66, v78
	v_dual_sub_f32 v40, v71, v75 :: v_dual_add_f32 v53, v70, v74
	v_fmac_f32_e32 v81, 0x3e9e377a, v41
	v_fma_f32 v42, -0.5, v53, v2
	s_delay_alu instid0(VALU_DEP_4) | instskip(SKIP_2) | instid1(VALU_DEP_3)
	v_fma_f32 v2, -0.5, v52, v2
	v_dual_sub_f32 v52, v66, v70 :: v_dual_sub_f32 v53, v67, v79
	v_sub_f32_e32 v57, v74, v78
	v_fmamk_f32 v55, v40, 0xbf737871, v2
	s_delay_alu instid0(VALU_DEP_3) | instskip(SKIP_1) | instid1(VALU_DEP_4)
	v_dual_add_f32 v52, v52, v54 :: v_dual_fmac_f32 v61, 0x3e9e377a, v41
	v_fmac_f32_e32 v2, 0x3f737871, v40
	v_dual_fmamk_f32 v41, v53, 0x3f737871, v42 :: v_dual_add_f32 v54, v56, v57
	v_fmac_f32_e32 v42, 0xbf737871, v53
	v_dual_fmac_f32 v55, 0x3f167918, v53 :: v_dual_sub_f32 v56, v66, v78
	s_delay_alu instid0(VALU_DEP_3) | instskip(SKIP_1) | instid1(VALU_DEP_4)
	v_fmac_f32_e32 v41, 0x3f167918, v40
	v_dual_fmac_f32 v2, 0xbf167918, v53 :: v_dual_sub_f32 v57, v70, v74
	v_dual_add_f32 v53, v3, v67 :: v_dual_fmac_f32 v42, 0xbf167918, v40
	s_delay_alu instid0(VALU_DEP_2) | instskip(SKIP_1) | instid1(VALU_DEP_3)
	v_dual_fmac_f32 v41, 0x3e9e377a, v52 :: v_dual_fmac_f32 v2, 0x3e9e377a, v54
	v_dual_add_f32 v40, v71, v75 :: v_dual_fmac_f32 v55, 0x3e9e377a, v54
	v_fmac_f32_e32 v42, 0x3e9e377a, v52
	v_add_f32_e32 v52, v67, v79
	v_sub_f32_e32 v54, v67, v71
	s_delay_alu instid0(VALU_DEP_4) | instskip(NEXT) | instid1(VALU_DEP_3)
	v_fma_f32 v40, -0.5, v40, v3
	v_fma_f32 v3, -0.5, v52, v3
	s_delay_alu instid0(VALU_DEP_2) | instskip(NEXT) | instid1(VALU_DEP_2)
	v_dual_add_f32 v52, v53, v71 :: v_dual_fmamk_f32 v53, v56, 0xbf737871, v40
	v_dual_sub_f32 v66, v75, v79 :: v_dual_fmamk_f32 v59, v57, 0x3f737871, v3
	s_delay_alu instid0(VALU_DEP_2) | instskip(NEXT) | instid1(VALU_DEP_2)
	v_dual_add_f32 v52, v52, v75 :: v_dual_fmac_f32 v53, 0xbf167918, v57
	v_dual_sub_f32 v67, v79, v75 :: v_dual_add_f32 v58, v58, v66
	s_delay_alu instid0(VALU_DEP_3) | instskip(NEXT) | instid1(VALU_DEP_3)
	v_fmac_f32_e32 v59, 0xbf167918, v56
	v_dual_fmac_f32 v3, 0xbf737871, v57 :: v_dual_add_f32 v70, v52, v79
	s_delay_alu instid0(VALU_DEP_3) | instskip(SKIP_1) | instid1(VALU_DEP_4)
	v_add_f32_e32 v54, v54, v67
	v_mul_f32_e32 v66, 0x3f4f1bbd, v41
	v_fmac_f32_e32 v59, 0x3e9e377a, v58
	v_fmac_f32_e32 v40, 0x3f737871, v56
	v_dual_add_f32 v52, v50, v62 :: v_dual_mul_f32 v75, 0xbf167918, v41
	s_delay_alu instid0(VALU_DEP_3) | instskip(NEXT) | instid1(VALU_DEP_3)
	v_mul_f32_e32 v67, 0x3f737871, v59
	v_dual_fmac_f32 v3, 0x3f167918, v56 :: v_dual_fmac_f32 v40, 0x3f167918, v57
	v_mul_f32_e32 v56, 0x3e9e377a, v2
	v_mul_f32_e32 v57, 0x3f4f1bbd, v42
	s_delay_alu instid0(VALU_DEP_4) | instskip(NEXT) | instid1(VALU_DEP_4)
	v_fmac_f32_e32 v67, 0x3e9e377a, v55
	v_fmac_f32_e32 v3, 0x3e9e377a, v58
	;; [unrolled: 1-line block ×3, first 2 shown]
	s_delay_alu instid0(VALU_DEP_2) | instskip(NEXT) | instid1(VALU_DEP_4)
	v_fma_f32 v71, 0x3f737871, v3, -v56
	v_add_f32_e32 v56, v60, v67
	s_delay_alu instid0(VALU_DEP_3) | instskip(SKIP_1) | instid1(VALU_DEP_4)
	v_fmac_f32_e32 v66, 0x3f167918, v53
	v_fmac_f32_e32 v75, 0x3f4f1bbd, v53
	v_dual_add_f32 v53, v80, v70 :: v_dual_add_f32 v58, v51, v71
	v_dual_fmac_f32 v40, 0x3e9e377a, v54 :: v_dual_mul_f32 v3, 0x3e9e377a, v3
	s_delay_alu instid0(VALU_DEP_4) | instskip(SKIP_1) | instid1(VALU_DEP_3)
	v_add_f32_e32 v54, v48, v66
	v_sub_f32_e32 v48, v48, v66
	v_dual_add_f32 v66, v90, v94 :: v_dual_mul_f32 v41, 0x3f4f1bbd, v40
	s_delay_alu instid0(VALU_DEP_4) | instskip(SKIP_2) | instid1(VALU_DEP_4)
	v_fma_f32 v2, 0xbf737871, v2, -v3
	v_mul_f32_e32 v78, 0xbf737871, v55
	v_fma_f32 v74, 0x3f167918, v40, -v57
	v_fma_f32 v3, 0xbf167918, v42, -v41
	v_sub_f32_e32 v42, v50, v62
	s_delay_alu instid0(VALU_DEP_4)
	v_fmac_f32_e32 v78, 0x3e9e377a, v59
	v_sub_f32_e32 v50, v60, v67
	v_sub_f32_e32 v60, v51, v71
	v_add_f32_e32 v41, v63, v3
	v_add_f32_e32 v67, v82, v86
	;; [unrolled: 1-line block ×3, first 2 shown]
	v_sub_f32_e32 v71, v87, v99
	v_fma_f32 v66, -0.5, v66, v82
	v_dual_add_f32 v40, v43, v74 :: v_dual_add_f32 v55, v49, v75
	v_dual_sub_f32 v62, v43, v74 :: v_dual_sub_f32 v49, v49, v75
	s_delay_alu instid0(VALU_DEP_3)
	v_dual_sub_f32 v43, v80, v70 :: v_dual_fmamk_f32 v70, v71, 0x3f737871, v66
	v_sub_f32_e32 v51, v81, v78
	v_dual_add_f32 v67, v67, v90 :: v_dual_fmac_f32 v66, 0xbf737871, v71
	v_dual_sub_f32 v74, v91, v95 :: v_dual_sub_f32 v75, v86, v90
	v_dual_sub_f32 v78, v98, v94 :: v_dual_sub_f32 v63, v63, v3
	v_add_f32_e32 v59, v61, v2
	v_dual_sub_f32 v61, v61, v2 :: v_dual_add_f32 v80, v83, v87
	v_add_f32_e32 v2, v67, v94
	v_dual_fmac_f32 v70, 0x3f167918, v74 :: v_dual_add_f32 v81, v91, v95
	v_add_f32_e32 v67, v75, v78
	v_add_f32_e32 v79, v86, v98
	v_fmac_f32_e32 v66, 0xbf167918, v74
	s_delay_alu instid0(VALU_DEP_3) | instskip(NEXT) | instid1(VALU_DEP_3)
	v_fmac_f32_e32 v70, 0x3e9e377a, v67
	v_fma_f32 v75, -0.5, v79, v82
	v_sub_f32_e32 v79, v94, v98
	v_fma_f32 v82, -0.5, v81, v83
	v_sub_f32_e32 v81, v87, v91
	s_delay_alu instid0(VALU_DEP_4)
	v_fmamk_f32 v3, v74, 0xbf737871, v75
	v_fmac_f32_e32 v75, 0x3f737871, v74
	v_sub_f32_e32 v78, v90, v86
	v_add_f32_e32 v2, v2, v98
	v_add_f32_e32 v74, v80, v91
	v_fmac_f32_e32 v3, 0x3f167918, v71
	v_fmac_f32_e32 v75, 0xbf167918, v71
	v_add_f32_e32 v78, v78, v79
	v_dual_sub_f32 v79, v86, v98 :: v_dual_fmac_f32 v66, 0x3e9e377a, v67
	v_add_f32_e32 v67, v74, v95
	s_delay_alu instid0(VALU_DEP_3) | instskip(NEXT) | instid1(VALU_DEP_3)
	v_dual_add_f32 v74, v87, v99 :: v_dual_fmac_f32 v3, 0x3e9e377a, v78
	v_dual_fmamk_f32 v71, v79, 0xbf737871, v82 :: v_dual_sub_f32 v80, v90, v94
	v_fmac_f32_e32 v75, 0x3e9e377a, v78
	s_delay_alu instid0(VALU_DEP_3) | instskip(SKIP_1) | instid1(VALU_DEP_4)
	v_dual_fmac_f32 v83, -0.5, v74 :: v_dual_fmac_f32 v82, 0x3f737871, v79
	v_add_f32_e32 v74, v81, v84
	v_dual_fmac_f32 v71, 0xbf167918, v80 :: v_dual_sub_f32 v78, v91, v87
	v_dual_add_f32 v84, v4, v36 :: v_dual_sub_f32 v81, v95, v99
	s_delay_alu instid0(VALU_DEP_4) | instskip(SKIP_2) | instid1(VALU_DEP_4)
	v_dual_add_f32 v67, v67, v99 :: v_dual_fmac_f32 v82, 0x3f167918, v80
	v_fmamk_f32 v97, v80, 0x3f737871, v83
	v_fmac_f32_e32 v83, 0xbf737871, v80
	v_add_f32_e32 v80, v84, v44
	v_dual_add_f32 v78, v78, v81 :: v_dual_add_f32 v81, v44, v32
	v_fmac_f32_e32 v82, 0x3e9e377a, v74
	s_delay_alu instid0(VALU_DEP_3) | instskip(SKIP_4) | instid1(VALU_DEP_4)
	v_dual_fmac_f32 v71, 0x3e9e377a, v74 :: v_dual_add_f32 v74, v80, v32
	v_dual_fmac_f32 v97, 0xbf167918, v79 :: v_dual_add_f32 v80, v36, v28
	v_fmac_f32_e32 v83, 0x3f167918, v79
	v_fma_f32 v79, -0.5, v81, v4
	v_dual_sub_f32 v81, v37, v29 :: v_dual_sub_f32 v84, v28, v32
	v_dual_fmac_f32 v97, 0x3e9e377a, v78 :: v_dual_add_f32 v74, v74, v28
	v_fma_f32 v4, -0.5, v80, v4
	s_delay_alu instid0(VALU_DEP_3) | instskip(SKIP_2) | instid1(VALU_DEP_3)
	v_dual_fmamk_f32 v85, v81, 0x3f737871, v79 :: v_dual_sub_f32 v80, v36, v44
	v_dual_fmac_f32 v83, 0x3e9e377a, v78 :: v_dual_sub_f32 v86, v44, v36
	v_sub_f32_e32 v78, v45, v33
	v_dual_fmac_f32 v79, 0xbf737871, v81 :: v_dual_add_f32 v80, v80, v84
	v_sub_f32_e32 v28, v36, v28
	s_delay_alu instid0(VALU_DEP_4) | instskip(NEXT) | instid1(VALU_DEP_4)
	v_add_f32_e32 v84, v86, v88
	v_fmamk_f32 v87, v78, 0xbf737871, v4
	v_fmac_f32_e32 v85, 0x3f167918, v78
	v_fmac_f32_e32 v4, 0x3f737871, v78
	v_dual_fmac_f32 v79, 0xbf167918, v78 :: v_dual_add_f32 v78, v45, v33
	s_delay_alu instid0(VALU_DEP_4) | instskip(NEXT) | instid1(VALU_DEP_4)
	v_fmac_f32_e32 v87, 0x3f167918, v81
	v_fmac_f32_e32 v85, 0x3e9e377a, v80
	s_delay_alu instid0(VALU_DEP_4)
	v_fmac_f32_e32 v4, 0xbf167918, v81
	v_add_f32_e32 v81, v5, v37
	v_dual_fmac_f32 v79, 0x3e9e377a, v80 :: v_dual_add_f32 v80, v37, v29
	v_fma_f32 v88, -0.5, v78, v5
	v_sub_f32_e32 v32, v44, v32
	v_dual_fmac_f32 v87, 0x3e9e377a, v84 :: v_dual_sub_f32 v78, v37, v45
	s_delay_alu instid0(VALU_DEP_4)
	v_fma_f32 v5, -0.5, v80, v5
	v_fmac_f32_e32 v4, 0x3e9e377a, v84
	v_add_f32_e32 v36, v81, v45
	v_sub_f32_e32 v37, v45, v37
	v_dual_sub_f32 v45, v33, v29 :: v_dual_fmamk_f32 v44, v28, 0xbf737871, v88
	v_dual_fmamk_f32 v81, v32, 0x3f737871, v5 :: v_dual_sub_f32 v80, v29, v33
	v_fmac_f32_e32 v5, 0xbf737871, v32
	s_delay_alu instid0(VALU_DEP_3) | instskip(NEXT) | instid1(VALU_DEP_3)
	v_dual_add_f32 v37, v37, v45 :: v_dual_fmac_f32 v44, 0xbf167918, v32
	v_fmac_f32_e32 v81, 0xbf167918, v28
	v_fmac_f32_e32 v88, 0x3f737871, v28
	s_delay_alu instid0(VALU_DEP_4) | instskip(SKIP_1) | instid1(VALU_DEP_4)
	v_dual_fmac_f32 v5, 0x3f167918, v28 :: v_dual_add_f32 v28, v36, v33
	v_add_f32_e32 v45, v78, v80
	v_dual_fmac_f32 v81, 0x3e9e377a, v37 :: v_dual_mul_f32 v36, 0x3e9e377a, v4
	v_add_f32_e32 v78, v2, v74
	s_delay_alu instid0(VALU_DEP_4) | instskip(SKIP_1) | instid1(VALU_DEP_4)
	v_add_f32_e32 v28, v28, v29
	v_fmac_f32_e32 v5, 0x3e9e377a, v37
	v_mul_f32_e32 v33, 0x3f737871, v81
	v_fmac_f32_e32 v88, 0x3f167918, v32
	v_mul_f32_e32 v32, 0x3f4f1bbd, v85
	v_fmac_f32_e32 v44, 0x3e9e377a, v45
	v_fma_f32 v29, 0x3f737871, v5, -v36
	s_delay_alu instid0(VALU_DEP_4) | instskip(SKIP_3) | instid1(VALU_DEP_4)
	v_dual_fmac_f32 v33, 0x3e9e377a, v87 :: v_dual_fmac_f32 v88, 0x3e9e377a, v45
	v_mul_f32_e32 v36, 0x3f4f1bbd, v79
	v_mul_f32_e32 v37, 0xbf167918, v85
	v_dual_mul_f32 v5, 0x3e9e377a, v5 :: v_dual_sub_f32 v90, v2, v74
	v_dual_mul_f32 v85, 0x3f4f1bbd, v88 :: v_dual_add_f32 v84, v3, v33
	v_mul_f32_e32 v45, 0xbf737871, v87
	s_delay_alu instid0(VALU_DEP_3) | instskip(SKIP_1) | instid1(VALU_DEP_4)
	v_fma_f32 v4, 0xbf737871, v4, -v5
	v_add_f32_e32 v2, v68, v72
	v_fma_f32 v5, 0xbf167918, v79, -v85
	v_add_f32_e32 v79, v67, v28
	v_fma_f32 v36, 0x3f167918, v88, -v36
	v_fmac_f32_e32 v45, 0x3e9e377a, v81
	s_delay_alu instid0(VALU_DEP_4) | instskip(SKIP_1) | instid1(VALU_DEP_4)
	v_dual_fmac_f32 v32, 0x3f167918, v44 :: v_dual_add_f32 v89, v82, v5
	v_dual_sub_f32 v94, v3, v33 :: v_dual_add_f32 v3, v0, v64
	v_add_f32_e32 v88, v66, v36
	v_dual_add_f32 v86, v75, v29 :: v_dual_fmac_f32 v37, 0x3f4f1bbd, v44
	s_delay_alu instid0(VALU_DEP_4) | instskip(SKIP_1) | instid1(VALU_DEP_3)
	v_dual_add_f32 v85, v97, v45 :: v_dual_add_f32 v80, v70, v32
	v_dual_sub_f32 v96, v75, v29 :: v_dual_sub_f32 v33, v64, v68
	v_dual_add_f32 v81, v71, v37 :: v_dual_sub_f32 v98, v66, v36
	v_sub_f32_e32 v93, v71, v37
	v_fma_f32 v2, -0.5, v2, v0
	v_sub_f32_e32 v29, v65, v77
	v_dual_add_f32 v37, v64, v76 :: v_dual_add_f32 v44, v69, v73
	v_add_f32_e32 v87, v83, v4
	v_sub_f32_e32 v92, v70, v32
	v_dual_sub_f32 v91, v67, v28 :: v_dual_sub_f32 v32, v69, v73
	v_dual_sub_f32 v95, v97, v45 :: v_dual_sub_f32 v36, v76, v72
	v_dual_add_f32 v3, v3, v68 :: v_dual_fmamk_f32 v28, v29, 0x3f737871, v2
	v_fmac_f32_e32 v2, 0xbf737871, v29
	v_fma_f32 v0, -0.5, v37, v0
	v_sub_f32_e32 v99, v82, v5
	v_add_f32_e32 v37, v1, v65
	v_sub_f32_e32 v97, v83, v4
	v_fmac_f32_e32 v28, 0x3f167918, v32
	v_dual_add_f32 v4, v33, v36 :: v_dual_fmamk_f32 v5, v32, 0xbf737871, v0
	v_sub_f32_e32 v33, v68, v64
	v_sub_f32_e32 v36, v72, v76
	v_fmac_f32_e32 v2, 0xbf167918, v32
	v_dual_fmac_f32 v0, 0x3f737871, v32 :: v_dual_sub_f32 v45, v65, v69
	v_add_f32_e32 v3, v3, v72
	v_fmac_f32_e32 v5, 0x3f167918, v29
	v_add_f32_e32 v33, v33, v36
	v_add_f32_e32 v32, v37, v69
	v_fma_f32 v36, -0.5, v44, v1
	v_dual_sub_f32 v37, v64, v76 :: v_dual_sub_f32 v64, v77, v73
	v_fmac_f32_e32 v28, 0x3e9e377a, v4
	v_fmac_f32_e32 v2, 0x3e9e377a, v4
	v_dual_fmac_f32 v0, 0xbf167918, v29 :: v_dual_add_f32 v3, v3, v76
	s_delay_alu instid0(VALU_DEP_4) | instskip(SKIP_3) | instid1(VALU_DEP_4)
	v_dual_add_f32 v4, v32, v73 :: v_dual_fmamk_f32 v29, v37, 0xbf737871, v36
	v_sub_f32_e32 v44, v68, v72
	v_add_f32_e32 v32, v65, v77
	v_fmac_f32_e32 v36, 0x3f737871, v37
	v_add_f32_e32 v4, v4, v77
	v_fmac_f32_e32 v0, 0x3e9e377a, v33
	v_fmac_f32_e32 v29, 0xbf167918, v44
	v_fmac_f32_e32 v1, -0.5, v32
	v_add_f32_e32 v32, v45, v64
	v_sub_f32_e32 v45, v69, v65
	v_add_f32_e32 v65, v6, v38
	v_fmac_f32_e32 v5, 0x3e9e377a, v33
	v_dual_fmamk_f32 v33, v44, 0x3f737871, v1 :: v_dual_sub_f32 v64, v73, v77
	v_fmac_f32_e32 v29, 0x3e9e377a, v32
	v_fmac_f32_e32 v1, 0xbf737871, v44
	;; [unrolled: 1-line block ×3, first 2 shown]
	s_delay_alu instid0(VALU_DEP_4) | instskip(SKIP_1) | instid1(VALU_DEP_4)
	v_dual_add_f32 v44, v65, v46 :: v_dual_fmac_f32 v33, 0xbf167918, v37
	v_dual_add_f32 v45, v45, v64 :: v_dual_add_f32 v64, v46, v34
	v_fmac_f32_e32 v1, 0x3f167918, v37
	s_delay_alu instid0(VALU_DEP_4) | instskip(NEXT) | instid1(VALU_DEP_3)
	v_fmac_f32_e32 v36, 0x3e9e377a, v32
	v_dual_add_f32 v32, v44, v34 :: v_dual_fmac_f32 v33, 0x3e9e377a, v45
	v_add_f32_e32 v44, v38, v30
	v_fma_f32 v37, -0.5, v64, v6
	v_dual_sub_f32 v64, v39, v31 :: v_dual_fmac_f32 v1, 0x3e9e377a, v45
	s_delay_alu instid0(VALU_DEP_4) | instskip(NEXT) | instid1(VALU_DEP_4)
	v_dual_add_f32 v32, v32, v30 :: v_dual_sub_f32 v45, v47, v35
	v_fma_f32 v6, -0.5, v44, v6
	s_delay_alu instid0(VALU_DEP_3) | instskip(SKIP_1) | instid1(VALU_DEP_3)
	v_dual_fmamk_f32 v44, v64, 0x3f737871, v37 :: v_dual_sub_f32 v65, v38, v46
	v_dual_sub_f32 v66, v30, v34 :: v_dual_fmac_f32 v37, 0xbf737871, v64
	v_dual_fmamk_f32 v67, v45, 0xbf737871, v6 :: v_dual_sub_f32 v68, v46, v38
	v_dual_fmac_f32 v6, 0x3f737871, v45 :: v_dual_sub_f32 v69, v34, v30
	s_delay_alu instid0(VALU_DEP_3) | instskip(NEXT) | instid1(VALU_DEP_4)
	v_dual_fmac_f32 v44, 0x3f167918, v45 :: v_dual_add_f32 v65, v65, v66
	v_fmac_f32_e32 v37, 0xbf167918, v45
	s_delay_alu instid0(VALU_DEP_4) | instskip(NEXT) | instid1(VALU_DEP_4)
	v_fmac_f32_e32 v67, 0x3f167918, v64
	v_dual_add_f32 v45, v47, v35 :: v_dual_fmac_f32 v6, 0xbf167918, v64
	v_add_f32_e32 v64, v39, v31
	v_add_f32_e32 v66, v68, v69
	v_fmac_f32_e32 v44, 0x3e9e377a, v65
	v_dual_fmac_f32 v37, 0x3e9e377a, v65 :: v_dual_sub_f32 v30, v38, v30
	v_dual_add_f32 v65, v7, v39 :: v_dual_sub_f32 v34, v46, v34
	v_fma_f32 v45, -0.5, v45, v7
	v_dual_fmac_f32 v7, -0.5, v64 :: v_dual_fmac_f32 v6, 0x3e9e377a, v66
	s_delay_alu instid0(VALU_DEP_3) | instskip(NEXT) | instid1(VALU_DEP_3)
	v_dual_fmac_f32 v67, 0x3e9e377a, v66 :: v_dual_add_f32 v38, v65, v47
	v_fmamk_f32 v46, v30, 0xbf737871, v45
	s_delay_alu instid0(VALU_DEP_3) | instskip(SKIP_2) | instid1(VALU_DEP_4)
	v_dual_sub_f32 v64, v39, v47 :: v_dual_fmamk_f32 v65, v34, 0x3f737871, v7
	v_fmac_f32_e32 v7, 0xbf737871, v34
	v_sub_f32_e32 v39, v47, v39
	v_dual_sub_f32 v47, v35, v31 :: v_dual_fmac_f32 v46, 0xbf167918, v34
	s_delay_alu instid0(VALU_DEP_4) | instskip(SKIP_1) | instid1(VALU_DEP_3)
	v_dual_sub_f32 v66, v31, v35 :: v_dual_fmac_f32 v65, 0xbf167918, v30
	v_fmac_f32_e32 v45, 0x3f737871, v30
	v_add_f32_e32 v39, v39, v47
	v_fmac_f32_e32 v7, 0x3f167918, v30
	s_delay_alu instid0(VALU_DEP_4) | instskip(SKIP_3) | instid1(VALU_DEP_4)
	v_dual_add_f32 v47, v64, v66 :: v_dual_add_f32 v30, v38, v35
	v_add_f32_e32 v64, v3, v32
	v_mul_f32_e32 v38, 0x3e9e377a, v6
	v_sub_f32_e32 v74, v3, v32
	v_add_f32_e32 v30, v30, v31
	v_fmac_f32_e32 v46, 0x3e9e377a, v47
	v_fmac_f32_e32 v45, 0x3f167918, v34
	v_mul_f32_e32 v34, 0x3f4f1bbd, v44
	v_fmac_f32_e32 v65, 0x3e9e377a, v39
	v_fmac_f32_e32 v7, 0x3e9e377a, v39
	v_mul_f32_e32 v39, 0xbf167918, v44
	v_dual_mul_f32 v44, 0xbf737871, v67 :: v_dual_sub_f32 v75, v4, v30
	s_delay_alu instid0(VALU_DEP_4) | instskip(NEXT) | instid1(VALU_DEP_2)
	v_mul_f32_e32 v35, 0x3f737871, v65
	v_dual_fmac_f32 v44, 0x3e9e377a, v65 :: v_dual_add_f32 v65, v4, v30
	s_delay_alu instid0(VALU_DEP_4) | instskip(SKIP_2) | instid1(VALU_DEP_2)
	v_fmac_f32_e32 v39, 0x3f4f1bbd, v46
	v_fmac_f32_e32 v34, 0x3f167918, v46
	v_add_f32_e32 v4, v12, v24
	v_dual_add_f32 v69, v33, v44 :: v_dual_add_f32 v66, v28, v34
	v_fma_f32 v31, 0x3f737871, v7, -v38
	v_mul_f32_e32 v38, 0x3f4f1bbd, v37
	v_mul_f32_e32 v7, 0x3e9e377a, v7
	v_fma_f32 v30, -0.5, v4, v8
	v_sub_f32_e32 v4, v20, v24
	v_add_f32_e32 v70, v0, v31
	v_fmac_f32_e32 v35, 0x3e9e377a, v67
	v_sub_f32_e32 v106, v0, v31
	v_sub_f32_e32 v0, v13, v25
	v_fma_f32 v6, 0xbf737871, v6, -v7
	v_add_f32_e32 v67, v29, v39
	v_add_f32_e32 v68, v5, v35
	v_fmac_f32_e32 v45, 0x3e9e377a, v47
	v_sub_f32_e32 v104, v5, v35
	v_dual_sub_f32 v102, v28, v34 :: v_dual_sub_f32 v103, v29, v39
	v_sub_f32_e32 v107, v1, v6
	s_delay_alu instid0(VALU_DEP_4) | instskip(SKIP_2) | instid1(VALU_DEP_3)
	v_fma_f32 v38, 0x3f167918, v45, -v38
	v_add_f32_e32 v71, v1, v6
	v_sub_f32_e32 v6, v25, v21
	v_dual_add_f32 v72, v2, v38 :: v_dual_mul_f32 v45, 0x3f4f1bbd, v45
	v_sub_f32_e32 v108, v2, v38
	v_dual_sub_f32 v2, v17, v21 :: v_dual_sub_f32 v5, v24, v20
	v_sub_f32_e32 v38, v18, v22
	s_delay_alu instid0(VALU_DEP_4) | instskip(SKIP_1) | instid1(VALU_DEP_4)
	v_fma_f32 v7, 0xbf167918, v37, -v45
	v_add_f32_e32 v37, v16, v20
	v_fmamk_f32 v31, v2, 0xbf737871, v30
	s_delay_alu instid0(VALU_DEP_3) | instskip(NEXT) | instid1(VALU_DEP_3)
	v_dual_fmac_f32 v30, 0x3f737871, v2 :: v_dual_add_f32 v73, v36, v7
	v_fma_f32 v28, -0.5, v37, v8
	s_delay_alu instid0(VALU_DEP_2) | instskip(NEXT) | instid1(VALU_DEP_2)
	v_dual_sub_f32 v109, v36, v7 :: v_dual_fmac_f32 v30, 0xbf167918, v0
	v_dual_sub_f32 v36, v22, v26 :: v_dual_fmamk_f32 v29, v0, 0x3f737871, v28
	v_fmac_f32_e32 v28, 0xbf737871, v0
	v_dual_sub_f32 v105, v33, v44 :: v_dual_sub_f32 v44, v19, v15
	s_delay_alu instid0(VALU_DEP_3) | instskip(NEXT) | instid1(VALU_DEP_3)
	v_fmac_f32_e32 v29, 0x3f167918, v2
	v_dual_fmac_f32 v28, 0xbf167918, v2 :: v_dual_sub_f32 v3, v12, v16
	s_delay_alu instid0(VALU_DEP_1) | instskip(SKIP_2) | instid1(VALU_DEP_3)
	v_dual_sub_f32 v2, v16, v20 :: v_dual_add_f32 v1, v3, v5
	v_add_f32_e32 v3, v17, v21
	v_sub_f32_e32 v5, v13, v17
	v_fmac_f32_e32 v28, 0x3e9e377a, v1
	s_delay_alu instid0(VALU_DEP_3) | instskip(SKIP_1) | instid1(VALU_DEP_1)
	v_fma_f32 v32, -0.5, v3, v9
	v_sub_f32_e32 v3, v16, v12
	v_dual_add_f32 v3, v3, v4 :: v_dual_add_f32 v4, v5, v6
	v_dual_fmac_f32 v31, 0x3f167918, v0 :: v_dual_add_f32 v0, v13, v25
	v_fmac_f32_e32 v29, 0x3e9e377a, v1
	v_dual_sub_f32 v1, v12, v24 :: v_dual_sub_f32 v6, v14, v18
	s_delay_alu instid0(VALU_DEP_3) | instskip(NEXT) | instid1(VALU_DEP_2)
	v_fma_f32 v34, -0.5, v0, v9
	v_dual_add_f32 v0, v18, v22 :: v_dual_fmamk_f32 v33, v1, 0xbf737871, v32
	v_fmac_f32_e32 v32, 0x3f737871, v1
	s_delay_alu instid0(VALU_DEP_3) | instskip(SKIP_1) | instid1(VALU_DEP_4)
	v_fmamk_f32 v35, v2, 0x3f737871, v34
	v_fmac_f32_e32 v34, 0xbf737871, v2
	v_fma_f32 v0, -0.5, v0, v10
	s_delay_alu instid0(VALU_DEP_4) | instskip(NEXT) | instid1(VALU_DEP_4)
	v_fmac_f32_e32 v32, 0x3f167918, v2
	v_fmac_f32_e32 v35, 0xbf167918, v1
	s_delay_alu instid0(VALU_DEP_4) | instskip(NEXT) | instid1(VALU_DEP_3)
	v_fmac_f32_e32 v34, 0x3f167918, v1
	v_dual_fmac_f32 v31, 0x3e9e377a, v3 :: v_dual_fmac_f32 v32, 0x3e9e377a, v4
	v_dual_fmac_f32 v30, 0x3e9e377a, v3 :: v_dual_sub_f32 v3, v17, v13
	v_sub_f32_e32 v5, v21, v25
	s_delay_alu instid0(VALU_DEP_1) | instskip(SKIP_2) | instid1(VALU_DEP_1)
	v_add_f32_e32 v3, v3, v5
	v_sub_f32_e32 v5, v19, v23
	v_dual_fmac_f32 v33, 0xbf167918, v2 :: v_dual_sub_f32 v2, v15, v27
	v_fmamk_f32 v1, v2, 0x3f737871, v0
	v_fmac_f32_e32 v0, 0xbf737871, v2
	v_fmac_f32_e32 v35, 0x3e9e377a, v3
	v_fmac_f32_e32 v34, 0x3e9e377a, v3
	s_delay_alu instid0(VALU_DEP_3) | instskip(SKIP_1) | instid1(VALU_DEP_1)
	v_fmac_f32_e32 v0, 0xbf167918, v5
	v_dual_fmac_f32 v33, 0x3e9e377a, v4 :: v_dual_add_f32 v4, v14, v26
	v_fma_f32 v4, -0.5, v4, v10
	v_sub_f32_e32 v7, v26, v22
	s_delay_alu instid0(VALU_DEP_1) | instskip(NEXT) | instid1(VALU_DEP_3)
	v_add_f32_e32 v3, v6, v7
	v_dual_sub_f32 v7, v18, v14 :: v_dual_fmamk_f32 v6, v5, 0xbf737871, v4
	s_delay_alu instid0(VALU_DEP_1) | instskip(SKIP_1) | instid1(VALU_DEP_3)
	v_add_f32_e32 v7, v7, v36
	v_add_f32_e32 v36, v15, v27
	v_fmac_f32_e32 v6, 0x3f167918, v2
	v_dual_fmac_f32 v4, 0x3f737871, v5 :: v_dual_add_f32 v37, v19, v23
	s_delay_alu instid0(VALU_DEP_3) | instskip(SKIP_1) | instid1(VALU_DEP_3)
	v_fma_f32 v39, -0.5, v36, v11
	v_sub_f32_e32 v36, v15, v19
	v_fmac_f32_e32 v4, 0xbf167918, v2
	v_fmac_f32_e32 v1, 0x3f167918, v5
	v_fma_f32 v5, -0.5, v37, v11
	v_fmamk_f32 v46, v38, 0x3f737871, v39
	v_dual_sub_f32 v37, v14, v26 :: v_dual_fmac_f32 v6, 0x3e9e377a, v7
	s_delay_alu instid0(VALU_DEP_1) | instskip(NEXT) | instid1(VALU_DEP_4)
	v_dual_sub_f32 v47, v27, v23 :: v_dual_fmac_f32 v46, 0xbf167918, v37
	v_dual_fmamk_f32 v2, v37, 0xbf737871, v5 :: v_dual_sub_f32 v45, v23, v27
	v_fmac_f32_e32 v5, 0x3f737871, v37
	s_delay_alu instid0(VALU_DEP_2) | instskip(NEXT) | instid1(VALU_DEP_3)
	v_fmac_f32_e32 v2, 0xbf167918, v38
	v_dual_fmac_f32 v1, 0x3e9e377a, v3 :: v_dual_add_f32 v44, v44, v45
	s_delay_alu instid0(VALU_DEP_1) | instskip(NEXT) | instid1(VALU_DEP_1)
	v_dual_add_f32 v45, v36, v47 :: v_dual_fmac_f32 v46, 0x3e9e377a, v44
	v_fmac_f32_e32 v2, 0x3e9e377a, v45
	v_fmac_f32_e32 v0, 0x3e9e377a, v3
	s_delay_alu instid0(VALU_DEP_1) | instskip(NEXT) | instid1(VALU_DEP_1)
	v_dual_mul_f32 v36, 0x3f4f1bbd, v1 :: v_dual_mul_f32 v3, 0x3f4f1bbd, v0
	v_fmac_f32_e32 v36, 0x3f167918, v2
	v_fmac_f32_e32 v39, 0xbf737871, v38
	s_delay_alu instid0(VALU_DEP_1) | instskip(SKIP_1) | instid1(VALU_DEP_2)
	v_fmac_f32_e32 v39, 0x3f167918, v37
	v_mul_f32_e32 v37, 0x3f737871, v46
	v_dual_fmac_f32 v4, 0x3e9e377a, v7 :: v_dual_fmac_f32 v39, 0x3e9e377a, v44
	s_delay_alu instid0(VALU_DEP_2) | instskip(SKIP_2) | instid1(VALU_DEP_4)
	v_fmac_f32_e32 v37, 0x3e9e377a, v6
	v_fmac_f32_e32 v5, 0x3f167918, v38
	v_mul_f32_e32 v44, 0xbf167918, v1
	v_mul_f32_e32 v7, 0x3e9e377a, v4
	;; [unrolled: 1-line block ×3, first 2 shown]
	s_delay_alu instid0(VALU_DEP_4) | instskip(SKIP_1) | instid1(VALU_DEP_4)
	v_fmac_f32_e32 v5, 0x3e9e377a, v45
	v_mul_f32_e32 v45, 0xbf737871, v6
	v_fma_f32 v38, 0x3f737871, v39, -v7
	s_delay_alu instid0(VALU_DEP_3) | instskip(NEXT) | instid1(VALU_DEP_3)
	v_mul_f32_e32 v6, 0x3f4f1bbd, v5
	v_fmac_f32_e32 v45, 0x3e9e377a, v46
	v_fma_f32 v46, 0xbf737871, v4, -v1
	v_mul_lo_u16 v1, v233, 10
	v_fma_f32 v39, 0x3f167918, v5, -v3
	v_fma_f32 v47, 0xbf167918, v0, -v6
	v_sub_f32_e32 v6, v31, v37
	v_sub_f32_e32 v0, v30, v38
	v_dual_sub_f32 v1, v34, v46 :: v_dual_and_b32 v76, 0xffff, v1
	s_delay_alu instid0(VALU_DEP_4) | instskip(NEXT) | instid1(VALU_DEP_2)
	v_dual_sub_f32 v3, v32, v47 :: v_dual_fmac_f32 v44, 0x3f4f1bbd, v2
	v_dual_sub_f32 v7, v35, v45 :: v_dual_lshlrev_b32 v244, 3, v76
	v_mul_u32_u24_e32 v76, 10, v148
	ds_store_b128 v244, v[52:55]
	ds_store_b128 v244, v[56:59] offset:16
	v_mul_u32_u24_e32 v52, 10, v100
	v_dual_sub_f32 v2, v28, v39 :: v_dual_lshlrev_b32 v53, 3, v76
	v_sub_f32_e32 v5, v33, v44
	v_sub_f32_e32 v4, v29, v36
	ds_store_b128 v244, v[40:43] offset:32
	ds_store_b128 v244, v[48:51] offset:48
	;; [unrolled: 1-line block ×3, first 2 shown]
	ds_store_b128 v53, v[78:81]
	ds_store_b128 v53, v[84:87] offset:16
	v_lshlrev_b32_e32 v41, 3, v52
	v_mul_u32_u24_e32 v40, 10, v101
	ds_store_b128 v53, v[88:91] offset:32
	ds_store_b128 v53, v[92:95] offset:48
	scratch_store_b32 off, v53, off offset:304 ; 4-byte Folded Spill
	ds_store_b128 v53, v[96:99] offset:64
	scratch_store_b32 off, v40, off offset:412 ; 4-byte Folded Spill
	ds_store_b128 v41, v[64:67]
	ds_store_b128 v41, v[68:71] offset:16
	ds_store_b128 v41, v[72:75] offset:32
	;; [unrolled: 1-line block ×3, first 2 shown]
	scratch_store_b32 off, v41, off offset:308 ; 4-byte Folded Spill
	ds_store_b128 v41, v[106:109] offset:64
	s_and_saveexec_b32 s2, vcc_lo
	s_cbranch_execz .LBB0_7
; %bb.6:
	v_dual_add_f32 v9, v9, v13 :: v_dual_add_f32 v8, v8, v12
	v_dual_add_f32 v11, v11, v15 :: v_dual_add_f32 v10, v10, v14
	v_add_f32_e32 v13, v35, v45
	s_delay_alu instid0(VALU_DEP_3) | instskip(NEXT) | instid1(VALU_DEP_3)
	v_dual_add_f32 v9, v9, v17 :: v_dual_add_f32 v8, v8, v16
	v_dual_add_f32 v11, v11, v19 :: v_dual_add_f32 v10, v10, v18
	v_add_f32_e32 v19, v33, v44
	s_delay_alu instid0(VALU_DEP_3) | instskip(NEXT) | instid1(VALU_DEP_3)
	v_dual_add_f32 v9, v9, v21 :: v_dual_add_f32 v8, v8, v20
	v_dual_add_f32 v11, v11, v23 :: v_dual_add_f32 v10, v10, v22
	s_delay_alu instid0(VALU_DEP_2) | instskip(SKIP_1) | instid1(VALU_DEP_4)
	v_dual_add_f32 v15, v34, v46 :: v_dual_add_f32 v12, v9, v25
	v_add_f32_e32 v9, v32, v47
	v_add_f32_e32 v8, v8, v24
	s_delay_alu instid0(VALU_DEP_4) | instskip(SKIP_2) | instid1(VALU_DEP_3)
	v_add_f32_e32 v16, v10, v26
	v_add_f32_e32 v14, v11, v27
	;; [unrolled: 1-line block ×3, first 2 shown]
	v_sub_f32_e32 v10, v8, v16
	v_add_f32_e32 v16, v8, v16
	v_mul_u32_u24_e32 v8, 10, v101
	v_sub_f32_e32 v11, v12, v14
	v_add_f32_e32 v17, v12, v14
	v_add_f32_e32 v14, v30, v38
	;; [unrolled: 1-line block ×3, first 2 shown]
	v_lshlrev_b32_e32 v20, 3, v8
	v_add_f32_e32 v8, v28, v39
	ds_store_b128 v20, v[16:19]
	ds_store_b128 v20, v[12:15] offset:16
	ds_store_b128 v20, v[8:11] offset:32
	;; [unrolled: 1-line block ×4, first 2 shown]
.LBB0_7:
	s_wait_alu 0xfffe
	s_or_b32 exec_lo, exec_lo, s2
	v_and_b32_e32 v8, 0xff, v233
	v_and_b32_e32 v9, 0xff, v148
	global_wb scope:SCOPE_SE
	s_wait_storecnt_dscnt 0x0
	s_barrier_signal -1
	s_barrier_wait -1
	v_mul_lo_u16 v8, 0xcd, v8
	v_mul_lo_u16 v9, 0xcd, v9
	global_inv scope:SCOPE_SE
	v_add_nc_u32_e32 v158, 0x2000, v255
	v_add_nc_u32_e32 v160, 0x3800, v255
	v_lshrrev_b16 v60, 11, v8
	v_lshrrev_b16 v46, 11, v9
	v_and_b32_e32 v64, 0xff, v101
	v_add_nc_u32_e32 v162, 0x1000, v255
	v_add_nc_u32_e32 v166, 0x400, v255
	v_mul_lo_u16 v8, v60, 10
	v_mul_lo_u16 v9, v46, 10
	v_and_b32_e32 v60, 0xffff, v60
	v_and_b32_e32 v46, 0xffff, v46
	v_add_nc_u32_e32 v159, 0x2800, v255
	v_sub_nc_u16 v8, v233, v8
	v_sub_nc_u16 v9, v148, v9
	v_and_b32_e32 v65, 0xff, v100
	v_mul_u32_u24_e32 v60, 60, v60
	v_mul_u32_u24_e32 v46, 60, v46
	v_and_b32_e32 v71, 0xff, v8
	v_and_b32_e32 v47, 0xff, v9
	v_add_nc_u32_e32 v163, 0xc00, v255
	v_add_nc_u32_e32 v161, 0x1800, v255
	;; [unrolled: 1-line block ×3, first 2 shown]
	v_mad_co_u64_u32 v[28:29], null, v71, 40, s[0:1]
	v_mad_co_u64_u32 v[30:31], null, v47, 40, s[0:1]
	s_clause 0x1
	global_load_b128 v[12:15], v[28:29], off
	global_load_b128 v[8:11], v[30:31], off
	v_add_nc_u32_e32 v156, 0x800, v255
	v_and_b32_e32 v69, 0xffff, v67
	v_add_nc_u32_e32 v165, 0x3c00, v255
	ds_load_2addr_b64 v[16:19], v156 offset0:104 offset1:164
	s_wait_loadcnt_dscnt 0x100
	v_dual_mul_f32 v24, v17, v13 :: v_dual_add_nc_u32 v157, 0x1400, v255
	s_wait_loadcnt 0x0
	v_mul_f32_e32 v74, v18, v9
	ds_load_2addr_b64 v[20:23], v157 offset0:80 offset1:140
	v_mul_f32_e32 v90, v16, v13
	v_mul_f32_e32 v25, v19, v9
	v_fma_f32 v103, v16, v12, -v24
	v_add_lshl_u32 v155, v60, v71, 3
	s_delay_alu instid0(VALU_DEP_4) | instskip(NEXT) | instid1(VALU_DEP_4)
	v_fmac_f32_e32 v90, v17, v12
	v_fma_f32 v85, v18, v8, -v25
	ds_load_2addr_b64 v[24:27], v158 offset0:56 offset1:116
	s_wait_dscnt 0x1
	v_mul_f32_e32 v16, v21, v15
	v_mul_f32_e32 v118, v20, v15
	v_mul_f32_e32 v17, v23, v11
	v_mul_f32_e32 v96, v22, v11
	s_delay_alu instid0(VALU_DEP_4) | instskip(NEXT) | instid1(VALU_DEP_4)
	v_fma_f32 v121, v20, v14, -v16
	v_fmac_f32_e32 v118, v21, v14
	s_delay_alu instid0(VALU_DEP_4) | instskip(NEXT) | instid1(VALU_DEP_4)
	v_fma_f32 v106, v22, v10, -v17
	v_fmac_f32_e32 v96, v23, v10
	global_load_b128 v[20:23], v[28:29], off offset:16
	s_wait_loadcnt_dscnt 0x0
	v_dual_fmac_f32 v74, v19, v8 :: v_dual_mul_f32 v119, v24, v21
	v_mul_f32_e32 v16, v25, v21
	s_delay_alu instid0(VALU_DEP_2) | instskip(NEXT) | instid1(VALU_DEP_2)
	v_fmac_f32_e32 v119, v25, v20
	v_fma_f32 v120, v24, v20, -v16
	global_load_b128 v[16:19], v[30:31], off offset:16
	s_wait_loadcnt 0x0
	v_mul_f32_e32 v24, v27, v17
	v_mul_f32_e32 v102, v26, v17
	s_delay_alu instid0(VALU_DEP_2) | instskip(NEXT) | instid1(VALU_DEP_2)
	v_fma_f32 v104, v26, v16, -v24
	v_fmac_f32_e32 v102, v27, v16
	ds_load_2addr_b64 v[24:27], v159 offset0:160 offset1:220
	s_wait_dscnt 0x0
	v_mul_f32_e32 v32, v25, v23
	v_mul_f32_e32 v122, v24, v23
	;; [unrolled: 1-line block ×3, first 2 shown]
	s_delay_alu instid0(VALU_DEP_3)
	v_fma_f32 v124, v24, v22, -v32
	s_clause 0x1
	global_load_b64 v[32:33], v[28:29], off offset:32
	global_load_b64 v[29:30], v[30:31], off offset:32
	v_mul_f32_e32 v24, v27, v19
	v_fmac_f32_e32 v122, v25, v22
	v_fmac_f32_e32 v114, v27, v18
	v_dual_add_f32 v71, v121, v124 :: v_dual_add_nc_u32 v164, 0x3000, v255
	s_delay_alu instid0(VALU_DEP_4)
	v_fma_f32 v116, v26, v18, -v24
	ds_load_2addr_b64 v[24:27], v160 offset0:8 offset1:68
	s_wait_loadcnt_dscnt 0x100
	v_mul_f32_e32 v28, v25, v33
	v_mul_f32_e32 v123, v24, v33
	s_wait_loadcnt 0x0
	v_mul_f32_e32 v115, v26, v30
	s_clause 0x1
	scratch_store_b64 off, v[32:33], off offset:276
	scratch_store_b64 off, v[29:30], off offset:268
	v_fma_f32 v125, v24, v32, -v28
	v_mul_f32_e32 v24, v27, v30
	v_fmac_f32_e32 v115, v27, v29
	v_fmac_f32_e32 v123, v25, v32
	ds_load_2addr_b64 v[40:43], v158 offset0:176 offset1:236
	v_add_nc_u32_e32 v66, 0xf0, v233
	v_fma_f32 v117, v26, v29, -v24
	v_mul_lo_u16 v24, 0xcd, v65
	v_sub_f32_e32 v147, v119, v123
	ds_load_2addr_b64 v[26:29], v163 offset0:96 offset1:156
	v_and_b32_e32 v68, 0xffff, v66
	v_mul_lo_u16 v65, 0x89, v65
	v_lshrrev_b16 v88, 11, v24
	v_mul_lo_u16 v24, 0xcd, v64
	v_sub_f32_e32 v145, v120, v125
	s_delay_alu instid0(VALU_DEP_4) | instskip(NEXT) | instid1(VALU_DEP_3)
	v_lshrrev_b16 v65, 13, v65
	v_lshrrev_b16 v61, 11, v24
	v_mul_lo_u16 v24, v88, 10
	s_delay_alu instid0(VALU_DEP_3) | instskip(NEXT) | instid1(VALU_DEP_3)
	v_mul_lo_u16 v65, v65, 60
	v_mul_lo_u16 v25, v61, 10
	s_delay_alu instid0(VALU_DEP_3) | instskip(NEXT) | instid1(VALU_DEP_3)
	v_sub_nc_u16 v24, v100, v24
	v_sub_nc_u16 v65, v100, v65
	s_delay_alu instid0(VALU_DEP_3) | instskip(NEXT) | instid1(VALU_DEP_3)
	v_sub_nc_u16 v25, v101, v25
	v_and_b32_e32 v89, 0xff, v24
	s_delay_alu instid0(VALU_DEP_3) | instskip(NEXT) | instid1(VALU_DEP_3)
	v_and_b32_e32 v175, 0xff, v65
	v_and_b32_e32 v62, 0xff, v25
	s_delay_alu instid0(VALU_DEP_3) | instskip(NEXT) | instid1(VALU_DEP_2)
	v_mad_co_u64_u32 v[44:45], null, v89, 40, s[0:1]
	v_mad_co_u64_u32 v[48:49], null, v62, 40, s[0:1]
	global_load_b128 v[36:39], v[44:45], off
	s_wait_loadcnt_dscnt 0x0
	v_mul_f32_e32 v80, v26, v37
	v_mul_f32_e32 v24, v27, v37
	s_delay_alu instid0(VALU_DEP_2) | instskip(NEXT) | instid1(VALU_DEP_2)
	v_fmac_f32_e32 v80, v27, v36
	v_fma_f32 v79, v26, v36, -v24
	global_load_b128 v[24:27], v[48:49], off
	s_wait_loadcnt 0x0
	v_mul_f32_e32 v30, v29, v25
	v_mul_f32_e32 v70, v28, v25
	s_delay_alu instid0(VALU_DEP_2) | instskip(NEXT) | instid1(VALU_DEP_2)
	v_fma_f32 v63, v28, v24, -v30
	v_fmac_f32_e32 v70, v29, v24
	ds_load_2addr_b64 v[28:31], v161 offset0:72 offset1:132
	s_wait_dscnt 0x0
	v_mul_f32_e32 v32, v29, v39
	v_mul_f32_e32 v91, v28, v39
	;; [unrolled: 1-line block ×3, first 2 shown]
	s_delay_alu instid0(VALU_DEP_3) | instskip(SKIP_3) | instid1(VALU_DEP_2)
	v_fma_f32 v94, v28, v38, -v32
	global_load_b128 v[32:35], v[44:45], off offset:16
	v_dual_mul_f32 v28, v31, v27 :: v_dual_fmac_f32 v91, v29, v38
	v_fmac_f32_e32 v75, v31, v26
	v_fma_f32 v78, v30, v26, -v28
	s_wait_loadcnt 0x0
	v_mul_f32_e32 v28, v41, v33
	v_mul_f32_e32 v92, v40, v33
	s_delay_alu instid0(VALU_DEP_2)
	v_fma_f32 v93, v40, v32, -v28
	global_load_b128 v[28:31], v[48:49], off offset:16
	v_fmac_f32_e32 v92, v41, v32
	s_wait_loadcnt 0x0
	v_mul_f32_e32 v40, v43, v29
	v_mul_f32_e32 v76, v42, v29
	s_delay_alu instid0(VALU_DEP_2) | instskip(NEXT) | instid1(VALU_DEP_2)
	v_fma_f32 v77, v42, v28, -v40
	v_fmac_f32_e32 v76, v43, v28
	ds_load_2addr_b64 v[40:43], v164 offset0:24 offset1:84
	s_wait_dscnt 0x0
	v_mul_f32_e32 v50, v41, v35
	v_mul_f32_e32 v105, v40, v35
	;; [unrolled: 1-line block ×3, first 2 shown]
	s_delay_alu instid0(VALU_DEP_3)
	v_fma_f32 v108, v40, v34, -v50
	s_clause 0x1
	global_load_b64 v[50:51], v[44:45], off offset:32
	global_load_b64 v[48:49], v[48:49], off offset:32
	v_dual_mul_f32 v40, v43, v31 :: v_dual_fmac_f32 v105, v41, v34
	v_fmac_f32_e32 v81, v43, v30
	ds_load_2addr_b64 v[110:113], v159 offset0:40 offset1:100
	v_fma_f32 v84, v42, v30, -v40
	ds_load_2addr_b64 v[40:43], v160 offset0:128 offset1:188
	s_wait_loadcnt_dscnt 0x100
	v_mul_f32_e32 v44, v41, v51
	s_wait_loadcnt 0x0
	v_dual_mul_f32 v107, v40, v51 :: v_dual_mul_f32 v82, v42, v49
	s_clause 0x1
	scratch_store_b64 off, v[50:51], off offset:292
	scratch_store_b64 off, v[48:49], off offset:284
	v_fma_f32 v109, v40, v50, -v44
	v_dual_mul_f32 v40, v43, v49 :: v_dual_fmac_f32 v107, v41, v50
	v_fmac_f32_e32 v82, v43, v48
	ds_load_2addr_b64 v[50:53], v162 offset0:88 offset1:148
	v_mul_lo_u16 v64, 0x89, v64
	v_fma_f32 v83, v42, v48, -v40
	v_mul_u32_u24_e32 v40, 0xcccd, v68
	s_delay_alu instid0(VALU_DEP_3) | instskip(NEXT) | instid1(VALU_DEP_2)
	v_lshrrev_b16 v64, 13, v64
	v_lshrrev_b32_e32 v72, 19, v40
	v_mul_u32_u24_e32 v40, 0xcccd, v69
	s_delay_alu instid0(VALU_DEP_3) | instskip(NEXT) | instid1(VALU_DEP_2)
	v_mul_lo_u16 v64, v64, 60
	v_lshrrev_b32_e32 v44, 19, v40
	s_delay_alu instid0(VALU_DEP_4) | instskip(NEXT) | instid1(VALU_DEP_3)
	v_mul_lo_u16 v40, v72, 10
	v_sub_nc_u16 v64, v101, v64
	s_delay_alu instid0(VALU_DEP_2) | instskip(NEXT) | instid1(VALU_DEP_4)
	v_sub_nc_u16 v73, v66, v40
	v_mul_lo_u16 v40, v44, 10
	s_delay_alu instid0(VALU_DEP_1) | instskip(NEXT) | instid1(VALU_DEP_3)
	v_sub_nc_u16 v45, v67, v40
	v_mul_lo_u16 v40, v73, 40
	s_delay_alu instid0(VALU_DEP_2) | instskip(NEXT) | instid1(VALU_DEP_2)
	v_mul_lo_u16 v41, v45, 40
	v_and_b32_e32 v40, 0xffff, v40
	s_delay_alu instid0(VALU_DEP_2) | instskip(NEXT) | instid1(VALU_DEP_2)
	v_and_b32_e32 v41, 0xffff, v41
	v_add_co_u32 v135, s2, s0, v40
	s_wait_alu 0xf1ff
	v_add_co_ci_u32_e64 v136, null, s1, 0, s2
	s_delay_alu instid0(VALU_DEP_3)
	v_add_co_u32 v137, s2, s0, v41
	s_wait_alu 0xf1ff
	v_add_co_ci_u32_e64 v138, null, s1, 0, s2
	global_load_b128 v[40:43], v[135:136], off
	s_wait_loadcnt_dscnt 0x0
	v_mul_f32_e32 v48, v51, v41
	v_mul_f32_e32 v127, v50, v41
	s_delay_alu instid0(VALU_DEP_2) | instskip(NEXT) | instid1(VALU_DEP_2)
	v_fma_f32 v126, v50, v40, -v48
	v_fmac_f32_e32 v127, v51, v40
	global_load_b128 v[48:51], v[137:138], off
	s_wait_loadcnt 0x0
	v_mul_f32_e32 v54, v53, v49
	v_mul_f32_e32 v87, v52, v49
	s_delay_alu instid0(VALU_DEP_2) | instskip(NEXT) | instid1(VALU_DEP_2)
	v_fma_f32 v86, v52, v48, -v54
	v_fmac_f32_e32 v87, v53, v48
	ds_load_2addr_b64 v[52:55], v161 offset0:192 offset1:252
	s_wait_dscnt 0x0
	v_mul_f32_e32 v56, v53, v43
	v_mul_f32_e32 v128, v52, v43
	;; [unrolled: 1-line block ×3, first 2 shown]
	s_delay_alu instid0(VALU_DEP_3) | instskip(SKIP_4) | instid1(VALU_DEP_3)
	v_fma_f32 v131, v52, v42, -v56
	global_load_b128 v[56:59], v[135:136], off offset:16
	v_mul_f32_e32 v52, v55, v51
	v_fmac_f32_e32 v128, v53, v42
	v_fmac_f32_e32 v95, v55, v50
	v_fma_f32 v97, v54, v50, -v52
	s_wait_loadcnt 0x0
	v_mul_f32_e32 v52, v111, v57
	v_mul_f32_e32 v129, v110, v57
	s_delay_alu instid0(VALU_DEP_2) | instskip(SKIP_3) | instid1(VALU_DEP_1)
	v_fma_f32 v130, v110, v56, -v52
	global_load_b128 v[52:55], v[137:138], off offset:16
	s_wait_loadcnt 0x0
	v_dual_fmac_f32 v129, v111, v56 :: v_dual_mul_f32 v98, v113, v53
	v_fma_f32 v99, v112, v52, -v98
	v_mul_f32_e32 v98, v112, v53
	s_delay_alu instid0(VALU_DEP_1)
	v_fmac_f32_e32 v98, v113, v52
	ds_load_2addr_b64 v[110:113], v164 offset0:144 offset1:204
	s_clause 0x1
	global_load_b64 v[142:143], v[135:136], off offset:32
	global_load_b64 v[140:141], v[137:138], off offset:32
	ds_load_2addr_b64 v[136:139], v165 offset0:120 offset1:180
	s_wait_dscnt 0x1
	v_mul_f32_e32 v132, v111, v59
	s_delay_alu instid0(VALU_DEP_1) | instskip(SKIP_2) | instid1(VALU_DEP_2)
	v_fma_f32 v134, v110, v58, -v132
	v_mul_f32_e32 v132, v110, v59
	v_mul_f32_e32 v110, v113, v55
	v_fmac_f32_e32 v132, v111, v58
	s_delay_alu instid0(VALU_DEP_2) | instskip(SKIP_1) | instid1(VALU_DEP_1)
	v_fma_f32 v111, v112, v54, -v110
	v_mul_f32_e32 v110, v112, v55
	v_fmac_f32_e32 v110, v113, v54
	s_wait_loadcnt_dscnt 0x100
	v_mul_f32_e32 v112, v137, v143
	v_mul_f32_e32 v133, v136, v143
	scratch_store_b64 off, v[142:143], off offset:340 ; 8-byte Folded Spill
	s_wait_loadcnt 0x0
	scratch_store_b64 off, v[140:141], off offset:332 ; 8-byte Folded Spill
	v_sub_f32_e32 v143, v118, v122
	v_fma_f32 v135, v136, v142, -v112
	v_dual_mul_f32 v112, v139, v141 :: v_dual_fmac_f32 v133, v137, v142
	v_sub_f32_e32 v142, v121, v124
	s_delay_alu instid0(VALU_DEP_2) | instskip(SKIP_1) | instid1(VALU_DEP_1)
	v_fma_f32 v113, v138, v140, -v112
	v_mul_f32_e32 v112, v138, v141
	v_fmac_f32_e32 v112, v139, v140
	ds_load_2addr_b64 v[136:139], v255 offset1:60
	s_wait_dscnt 0x0
	v_dual_add_f32 v60, v136, v121 :: v_dual_add_f32 v121, v137, v118
	v_add_f32_e32 v118, v118, v122
	v_fma_f32 v71, -0.5, v71, v136
	s_delay_alu instid0(VALU_DEP_3) | instskip(NEXT) | instid1(VALU_DEP_4)
	v_add_f32_e32 v60, v60, v124
	v_dual_add_f32 v144, v121, v122 :: v_dual_add_f32 v121, v119, v123
	v_add_f32_e32 v124, v120, v125
	v_add_f32_e32 v122, v90, v119
	v_fma_f32 v152, -0.5, v118, v137
	s_delay_alu instid0(VALU_DEP_4)
	v_dual_fmamk_f32 v153, v143, 0x3f5db3d7, v71 :: v_dual_fmac_f32 v90, -0.5, v121
	v_add_f32_e32 v121, v103, v120
	v_fmac_f32_e32 v103, -0.5, v124
	v_add_f32_e32 v149, v122, v123
	v_fmamk_f32 v154, v142, 0xbf5db3d7, v152
	v_fmamk_f32 v119, v145, 0xbf5db3d7, v90
	v_add_f32_e32 v146, v121, v125
	s_delay_alu instid0(VALU_DEP_4) | instskip(SKIP_1) | instid1(VALU_DEP_4)
	v_dual_fmamk_f32 v120, v147, 0x3f5db3d7, v103 :: v_dual_add_f32 v137, v144, v149
	v_fmac_f32_e32 v103, 0xbf5db3d7, v147
	v_mul_f32_e32 v150, 0x3f5db3d7, v119
	s_delay_alu instid0(VALU_DEP_3) | instskip(SKIP_1) | instid1(VALU_DEP_3)
	v_dual_add_f32 v136, v60, v146 :: v_dual_mul_f32 v151, 0xbf5db3d7, v120
	v_fmac_f32_e32 v90, 0x3f5db3d7, v145
	v_dual_fmac_f32 v71, 0xbf5db3d7, v143 :: v_dual_fmac_f32 v150, 0.5, v120
	s_delay_alu instid0(VALU_DEP_3)
	v_dual_fmac_f32 v152, 0x3f5db3d7, v142 :: v_dual_fmac_f32 v151, 0.5, v119
	ds_load_2addr_b64 v[118:121], v255 offset0:120 offset1:180
	ds_load_2addr_b64 v[122:125], v166 offset0:112 offset1:172
	global_wb scope:SCOPE_SE
	s_wait_storecnt_dscnt 0x0
	v_add_f32_e32 v140, v153, v150
	s_barrier_signal -1
	v_add_f32_e32 v141, v154, v151
	s_barrier_wait -1
	global_inv scope:SCOPE_SE
	v_mul_u32_u24_e32 v68, 0x8889, v68
	ds_store_2addr_b64 v155, v[136:137], v[140:141] offset1:10
	v_sub_f32_e32 v136, v60, v146
	v_dual_mul_f32 v60, -0.5, v103 :: v_dual_sub_f32 v137, v144, v149
	v_lshrrev_b32_e32 v68, 21, v68
	s_delay_alu instid0(VALU_DEP_2) | instskip(SKIP_1) | instid1(VALU_DEP_3)
	v_fmac_f32_e32 v60, 0x3f5db3d7, v90
	v_mul_f32_e32 v90, -0.5, v90
	v_mul_lo_u16 v68, v68, 60
	s_delay_alu instid0(VALU_DEP_3) | instskip(NEXT) | instid1(VALU_DEP_3)
	v_add_f32_e32 v140, v71, v60
	v_dual_fmac_f32 v90, 0xbf5db3d7, v103 :: v_dual_add_f32 v103, v104, v117
	s_delay_alu instid0(VALU_DEP_1)
	v_add_f32_e32 v141, v152, v90
	ds_store_2addr_b64 v155, v[140:141], v[136:137] offset0:20 offset1:30
	v_dual_sub_f32 v136, v153, v150 :: v_dual_sub_f32 v137, v154, v151
	v_dual_sub_f32 v140, v71, v60 :: v_dual_sub_f32 v141, v152, v90
	v_sub_f32_e32 v60, v106, v116
	v_add_f32_e32 v90, v96, v114
	v_sub_nc_u16 v150, v66, v68
	v_mul_u32_u24_e32 v66, 0x8889, v69
	ds_store_2addr_b64 v155, v[136:137], v[140:141] offset0:40 offset1:50
	v_add_lshl_u32 v140, v46, v47, 3
	v_add_f32_e32 v46, v138, v106
	v_add_f32_e32 v47, v106, v116
	v_lshrrev_b32_e32 v66, 21, v66
	v_and_b32_e32 v153, 0xff, v64
	v_mul_lo_u16 v64, v150, 40
	v_add_f32_e32 v71, v46, v116
	v_dual_add_f32 v46, v139, v96 :: v_dual_fmac_f32 v139, -0.5, v90
	v_add_f32_e32 v90, v74, v102
	v_sub_f32_e32 v116, v102, v115
	v_sub_f32_e32 v96, v96, v114
	s_delay_alu instid0(VALU_DEP_4) | instskip(SKIP_4) | instid1(VALU_DEP_4)
	v_add_f32_e32 v106, v46, v114
	v_add_f32_e32 v46, v102, v115
	;; [unrolled: 1-line block ×3, first 2 shown]
	v_fma_f32 v136, -0.5, v47, v138
	v_fmamk_f32 v138, v60, 0xbf5db3d7, v139
	v_dual_fmac_f32 v139, 0x3f5db3d7, v60 :: v_dual_fmac_f32 v74, -0.5, v46
	v_add_f32_e32 v46, v85, v104
	v_dual_sub_f32 v104, v104, v117 :: v_dual_fmac_f32 v85, -0.5, v103
	v_fmamk_f32 v137, v96, 0x3f5db3d7, v136
	v_add_f32_e32 v47, v106, v90
	s_delay_alu instid0(VALU_DEP_4) | instskip(NEXT) | instid1(VALU_DEP_4)
	v_add_f32_e32 v114, v46, v117
	v_fmamk_f32 v46, v104, 0xbf5db3d7, v74
	v_fmamk_f32 v102, v116, 0x3f5db3d7, v85
	v_fmac_f32_e32 v85, 0xbf5db3d7, v116
	v_fmac_f32_e32 v74, 0x3f5db3d7, v104
	;; [unrolled: 1-line block ×3, first 2 shown]
	v_mul_f32_e32 v115, 0x3f5db3d7, v46
	s_delay_alu instid0(VALU_DEP_4) | instskip(SKIP_1) | instid1(VALU_DEP_3)
	v_dual_mul_f32 v117, 0xbf5db3d7, v102 :: v_dual_mul_f32 v60, -0.5, v85
	v_mul_lo_u16 v66, v66, 60
	v_dual_fmac_f32 v115, 0.5, v102 :: v_dual_and_b32 v64, 0xffff, v64
	s_delay_alu instid0(VALU_DEP_3) | instskip(SKIP_3) | instid1(VALU_DEP_4)
	v_fmac_f32_e32 v117, 0.5, v46
	v_add_f32_e32 v46, v71, v114
	v_fmac_f32_e32 v60, 0x3f5db3d7, v74
	v_sub_nc_u16 v149, v67, v66
	v_dual_add_f32 v102, v137, v115 :: v_dual_add_f32 v103, v138, v117
	v_add_co_u32 v64, s2, s0, v64
	s_delay_alu instid0(VALU_DEP_3)
	v_mul_lo_u16 v65, v149, 40
	ds_store_2addr_b64 v140, v[46:47], v[102:103] offset1:10
	v_sub_f32_e32 v46, v71, v114
	v_mul_f32_e32 v71, -0.5, v74
	v_dual_sub_f32 v47, v106, v90 :: v_dual_add_f32 v102, v136, v60
	v_sub_f32_e32 v74, v91, v105
	s_delay_alu instid0(VALU_DEP_3) | instskip(SKIP_1) | instid1(VALU_DEP_2)
	v_fmac_f32_e32 v71, 0xbf5db3d7, v85
	v_add_f32_e32 v85, v91, v105
	v_add_f32_e32 v103, v139, v71
	s_delay_alu instid0(VALU_DEP_2)
	v_fma_f32 v85, -0.5, v85, v119
	ds_store_2addr_b64 v140, v[102:103], v[46:47] offset0:20 offset1:30
	v_dual_sub_f32 v47, v139, v71 :: v_dual_sub_f32 v46, v136, v60
	v_dual_sub_f32 v102, v137, v115 :: v_dual_sub_f32 v103, v138, v117
	v_sub_f32_e32 v60, v94, v108
	v_mad_co_u64_u32 v[114:115], null, v233, 40, s[0:1]
	ds_store_2addr_b64 v140, v[102:103], v[46:47] offset0:40 offset1:50
	v_and_b32_e32 v46, 0xffff, v88
	v_add_f32_e32 v88, v80, v92
	v_add_f32_e32 v47, v94, v108
	s_delay_alu instid0(VALU_DEP_3) | instskip(NEXT) | instid1(VALU_DEP_2)
	v_mul_u32_u24_e32 v46, 60, v46
	v_fma_f32 v103, -0.5, v47, v118
	s_delay_alu instid0(VALU_DEP_2) | instskip(SKIP_2) | instid1(VALU_DEP_4)
	v_add_lshl_u32 v106, v46, v89, 3
	v_dual_add_f32 v46, v118, v94 :: v_dual_add_f32 v89, v93, v109
	v_add_f32_e32 v94, v88, v107
	v_fmamk_f32 v104, v74, 0x3f5db3d7, v103
	v_fmac_f32_e32 v103, 0xbf5db3d7, v74
	s_delay_alu instid0(VALU_DEP_4)
	v_dual_add_f32 v71, v46, v108 :: v_dual_add_f32 v46, v119, v91
	v_sub_f32_e32 v91, v93, v109
	scratch_store_b32 off, v140, off offset:300 ; 4-byte Folded Spill
	v_add_f32_e32 v90, v46, v105
	v_add_f32_e32 v46, v92, v107
	v_sub_f32_e32 v92, v92, v107
	v_fmamk_f32 v105, v60, 0xbf5db3d7, v85
	v_fmac_f32_e32 v85, 0x3f5db3d7, v60
	v_add_f32_e32 v47, v90, v94
	v_fmac_f32_e32 v80, -0.5, v46
	v_add_f32_e32 v46, v79, v93
	v_fmac_f32_e32 v79, -0.5, v89
	s_delay_alu instid0(VALU_DEP_2) | instskip(NEXT) | instid1(VALU_DEP_2)
	v_dual_add_f32 v93, v46, v109 :: v_dual_fmamk_f32 v46, v91, 0xbf5db3d7, v80
	v_fmamk_f32 v88, v92, 0x3f5db3d7, v79
	v_fmac_f32_e32 v79, 0xbf5db3d7, v92
	v_fmac_f32_e32 v80, 0x3f5db3d7, v91
	s_delay_alu instid0(VALU_DEP_4) | instskip(NEXT) | instid1(VALU_DEP_4)
	v_mul_f32_e32 v96, 0x3f5db3d7, v46
	v_mul_f32_e32 v102, 0xbf5db3d7, v88
	s_delay_alu instid0(VALU_DEP_4) | instskip(NEXT) | instid1(VALU_DEP_3)
	v_mul_f32_e32 v60, -0.5, v79
	v_fmac_f32_e32 v96, 0.5, v88
	s_delay_alu instid0(VALU_DEP_3) | instskip(SKIP_1) | instid1(VALU_DEP_4)
	v_fmac_f32_e32 v102, 0.5, v46
	v_add_f32_e32 v46, v71, v93
	v_fmac_f32_e32 v60, 0x3f5db3d7, v80
	s_delay_alu instid0(VALU_DEP_3) | instskip(SKIP_3) | instid1(VALU_DEP_2)
	v_dual_add_f32 v88, v104, v96 :: v_dual_add_f32 v89, v105, v102
	ds_store_2addr_b64 v106, v[46:47], v[88:89] offset1:10
	v_dual_sub_f32 v46, v71, v93 :: v_dual_mul_f32 v71, -0.5, v80
	v_sub_f32_e32 v47, v90, v94
	v_fmac_f32_e32 v71, 0xbf5db3d7, v79
	s_delay_alu instid0(VALU_DEP_1)
	v_dual_add_f32 v79, v103, v60 :: v_dual_add_f32 v80, v85, v71
	ds_store_2addr_b64 v106, v[79:80], v[46:47] offset0:20 offset1:30
	v_dual_sub_f32 v46, v104, v96 :: v_dual_sub_f32 v47, v105, v102
	v_dual_sub_f32 v79, v103, v60 :: v_dual_sub_f32 v80, v85, v71
	v_dual_sub_f32 v71, v78, v84 :: v_dual_add_f32 v60, v75, v81
	ds_store_2addr_b64 v106, v[46:47], v[79:80] offset0:40 offset1:50
	v_dual_add_f32 v46, v120, v78 :: v_dual_add_f32 v47, v78, v84
	v_add_f32_e32 v79, v70, v76
	s_delay_alu instid0(VALU_DEP_2) | instskip(SKIP_2) | instid1(VALU_DEP_4)
	v_add_f32_e32 v74, v46, v84
	v_dual_add_f32 v46, v121, v75 :: v_dual_fmac_f32 v121, -0.5, v60
	v_add_f32_e32 v60, v63, v77
	v_add_f32_e32 v79, v79, v82
	v_sub_f32_e32 v75, v75, v81
	s_delay_alu instid0(VALU_DEP_4)
	v_add_f32_e32 v78, v46, v81
	v_add_f32_e32 v46, v77, v83
	v_sub_f32_e32 v77, v77, v83
	v_add_f32_e32 v80, v60, v83
	v_fmamk_f32 v84, v71, 0xbf5db3d7, v121
	v_fmac_f32_e32 v121, 0x3f5db3d7, v71
	v_fmac_f32_e32 v63, -0.5, v46
	v_add_f32_e32 v46, v76, v82
	v_sub_f32_e32 v76, v76, v82
	s_delay_alu instid0(VALU_DEP_2) | instskip(NEXT) | instid1(VALU_DEP_2)
	v_fmac_f32_e32 v70, -0.5, v46
	v_fmamk_f32 v60, v76, 0x3f5db3d7, v63
	s_delay_alu instid0(VALU_DEP_2) | instskip(NEXT) | instid1(VALU_DEP_2)
	v_dual_fmac_f32 v63, 0xbf5db3d7, v76 :: v_dual_fmamk_f32 v46, v77, 0xbf5db3d7, v70
	v_mul_f32_e32 v82, 0xbf5db3d7, v60
	s_delay_alu instid0(VALU_DEP_2) | instskip(SKIP_1) | instid1(VALU_DEP_4)
	v_dual_fmac_f32 v70, 0x3f5db3d7, v77 :: v_dual_mul_f32 v71, -0.5, v63
	v_sub_f32_e32 v77, v129, v133
	v_mul_f32_e32 v81, 0x3f5db3d7, v46
	s_delay_alu instid0(VALU_DEP_4) | instskip(SKIP_2) | instid1(VALU_DEP_4)
	v_fmac_f32_e32 v82, 0.5, v46
	v_and_b32_e32 v46, 0xffff, v61
	v_fmac_f32_e32 v71, 0x3f5db3d7, v70
	v_dual_mul_f32 v70, -0.5, v70 :: v_dual_fmac_f32 v81, 0.5, v60
	s_delay_alu instid0(VALU_DEP_4) | instskip(NEXT) | instid1(VALU_DEP_4)
	v_add_f32_e32 v61, v84, v82
	v_mul_u32_u24_e32 v46, 60, v46
	s_delay_alu instid0(VALU_DEP_3) | instskip(NEXT) | instid1(VALU_DEP_2)
	v_dual_fmac_f32 v70, 0xbf5db3d7, v63 :: v_dual_sub_f32 v63, v131, v134
	v_add_lshl_u32 v85, v46, v62, 3
	v_fma_f32 v62, -0.5, v47, v120
	v_add_f32_e32 v46, v74, v80
	v_add_f32_e32 v47, v78, v79
	scratch_store_b32 off, v106, off offset:312 ; 4-byte Folded Spill
	v_fmamk_f32 v83, v75, 0x3f5db3d7, v62
	v_fmac_f32_e32 v62, 0xbf5db3d7, v75
	s_delay_alu instid0(VALU_DEP_2)
	v_dual_sub_f32 v75, v130, v135 :: v_dual_add_f32 v60, v83, v81
	ds_store_2addr_b64 v85, v[46:47], v[60:61] offset1:10
	v_sub_f32_e32 v46, v74, v80
	v_sub_f32_e32 v47, v78, v79
	v_dual_add_f32 v60, v62, v71 :: v_dual_add_f32 v61, v121, v70
	ds_store_2addr_b64 v85, v[60:61], v[46:47] offset0:20 offset1:30
	v_dual_sub_f32 v47, v121, v70 :: v_dual_sub_f32 v46, v62, v71
	v_dual_sub_f32 v60, v83, v81 :: v_dual_sub_f32 v61, v84, v82
	v_add_f32_e32 v71, v128, v132
	v_sub_f32_e32 v70, v128, v132
	ds_store_2addr_b64 v85, v[60:61], v[46:47] offset0:40 offset1:50
	v_add_f32_e32 v47, v130, v135
	v_dual_add_f32 v60, v126, v130 :: v_dual_add_f32 v61, v127, v129
	v_add_f32_e32 v46, v122, v131
	v_fma_f32 v71, -0.5, v71, v123
	s_delay_alu instid0(VALU_DEP_4) | instskip(NEXT) | instid1(VALU_DEP_4)
	v_dual_fmac_f32 v126, -0.5, v47 :: v_dual_add_f32 v47, v129, v133
	v_add_f32_e32 v76, v60, v135
	s_delay_alu instid0(VALU_DEP_4) | instskip(SKIP_1) | instid1(VALU_DEP_4)
	v_add_f32_e32 v62, v46, v134
	v_add_f32_e32 v46, v131, v134
	v_dual_fmamk_f32 v60, v77, 0x3f5db3d7, v126 :: v_dual_fmac_f32 v127, -0.5, v47
	v_dual_add_f32 v47, v123, v128 :: v_dual_add_f32 v78, v61, v133
	v_fmamk_f32 v82, v63, 0xbf5db3d7, v71
	s_delay_alu instid0(VALU_DEP_3) | instskip(SKIP_1) | instid1(VALU_DEP_4)
	v_mul_f32_e32 v80, 0xbf5db3d7, v60
	v_fmac_f32_e32 v126, 0xbf5db3d7, v77
	v_add_f32_e32 v74, v47, v132
	v_fmamk_f32 v47, v75, 0xbf5db3d7, v127
	v_fmac_f32_e32 v127, 0x3f5db3d7, v75
	v_fmac_f32_e32 v71, 0x3f5db3d7, v63
	s_delay_alu instid0(VALU_DEP_3) | instskip(SKIP_1) | instid1(VALU_DEP_4)
	v_mul_f32_e32 v79, 0x3f5db3d7, v47
	v_dual_fmac_f32 v80, 0.5, v47 :: v_dual_add_f32 v47, v74, v78
	v_mul_f32_e32 v63, -0.5, v127
	s_delay_alu instid0(VALU_DEP_3)
	v_fmac_f32_e32 v79, 0.5, v60
	v_mad_u16 v60, v72, 60, v73
	v_fma_f32 v72, -0.5, v46, v122
	v_add_f32_e32 v46, v62, v76
	v_add_f32_e32 v61, v82, v80
	v_fmac_f32_e32 v63, 0xbf5db3d7, v126
	v_and_b32_e32 v73, 0xffff, v60
	v_fmamk_f32 v81, v70, 0x3f5db3d7, v72
	v_fmac_f32_e32 v72, 0xbf5db3d7, v70
	s_delay_alu instid0(VALU_DEP_3) | instskip(NEXT) | instid1(VALU_DEP_3)
	v_dual_add_f32 v70, v87, v98 :: v_dual_lshlrev_b32 v73, 3, v73
	v_add_f32_e32 v60, v81, v79
	s_clause 0x1
	scratch_store_b32 off, v85, off offset:316
	scratch_store_b32 off, v155, off offset:328
	v_add_f32_e32 v70, v70, v112
	scratch_store_b32 off, v73, off offset:320 ; 4-byte Folded Spill
	ds_store_2addr_b64 v73, v[46:47], v[60:61] offset1:10
	v_sub_f32_e32 v46, v62, v76
	v_mul_f32_e32 v62, -0.5, v126
	v_sub_f32_e32 v47, v74, v78
	v_add_f32_e32 v61, v71, v63
	s_delay_alu instid0(VALU_DEP_3) | instskip(NEXT) | instid1(VALU_DEP_1)
	v_fmac_f32_e32 v62, 0x3f5db3d7, v127
	v_add_f32_e32 v60, v72, v62
	ds_store_2addr_b64 v73, v[60:61], v[46:47] offset0:20 offset1:30
	v_sub_f32_e32 v60, v72, v62
	v_add_f32_e32 v62, v99, v113
	v_dual_sub_f32 v46, v81, v79 :: v_dual_sub_f32 v47, v82, v80
	v_sub_f32_e32 v61, v71, v63
	s_delay_alu instid0(VALU_DEP_3)
	v_dual_add_f32 v63, v86, v99 :: v_dual_fmac_f32 v86, -0.5, v62
	v_add_f32_e32 v62, v98, v112
	v_sub_f32_e32 v72, v99, v113
	ds_store_2addr_b64 v73, v[46:47], v[60:61] offset0:40 offset1:50
	v_dual_add_f32 v47, v125, v95 :: v_dual_add_f32 v46, v95, v110
	v_fmac_f32_e32 v87, -0.5, v62
	v_sub_f32_e32 v73, v98, v112
	v_sub_f32_e32 v61, v97, v111
	s_delay_alu instid0(VALU_DEP_4)
	v_add_f32_e32 v71, v47, v110
	v_fmac_f32_e32 v125, -0.5, v46
	v_fmamk_f32 v47, v72, 0xbf5db3d7, v87
	v_add_f32_e32 v46, v124, v97
	v_fmamk_f32 v74, v73, 0x3f5db3d7, v86
	v_sub_f32_e32 v62, v95, v110
	v_add_f32_e32 v63, v63, v113
	v_mul_f32_e32 v75, 0x3f5db3d7, v47
	v_add_f32_e32 v60, v46, v111
	v_add_f32_e32 v46, v97, v111
	v_dual_fmamk_f32 v79, v61, 0xbf5db3d7, v125 :: v_dual_fmac_f32 v86, 0xbf5db3d7, v73
	s_delay_alu instid0(VALU_DEP_4) | instskip(SKIP_1) | instid1(VALU_DEP_4)
	v_fmac_f32_e32 v75, 0.5, v74
	v_mul_f32_e32 v74, 0xbf5db3d7, v74
	v_fma_f32 v76, -0.5, v46, v124
	v_fmac_f32_e32 v87, 0x3f5db3d7, v72
	s_delay_alu instid0(VALU_DEP_3) | instskip(SKIP_1) | instid1(VALU_DEP_4)
	v_dual_fmac_f32 v125, 0x3f5db3d7, v61 :: v_dual_fmac_f32 v74, 0.5, v47
	v_mad_u16 v47, v44, 60, v45
	v_fmamk_f32 v78, v62, 0x3f5db3d7, v76
	v_dual_add_f32 v44, v60, v63 :: v_dual_add_f32 v45, v71, v70
	v_mul_f32_e32 v61, -0.5, v87
	s_delay_alu instid0(VALU_DEP_4) | instskip(NEXT) | instid1(VALU_DEP_4)
	v_and_b32_e32 v77, 0xffff, v47
	v_dual_add_f32 v46, v78, v75 :: v_dual_add_f32 v47, v79, v74
	v_fmac_f32_e32 v76, 0xbf5db3d7, v62
	s_delay_alu instid0(VALU_DEP_4) | instskip(NEXT) | instid1(VALU_DEP_4)
	v_fmac_f32_e32 v61, 0xbf5db3d7, v86
	v_lshlrev_b32_e32 v77, 3, v77
	ds_store_2addr_b64 v77, v[44:45], v[46:47] offset1:10
	v_sub_f32_e32 v44, v60, v63
	v_mul_f32_e32 v60, -0.5, v86
	v_sub_f32_e32 v45, v71, v70
	v_add_f32_e32 v47, v125, v61
	scratch_store_b32 off, v77, off offset:324 ; 4-byte Folded Spill
	v_fmac_f32_e32 v60, 0x3f5db3d7, v87
	s_delay_alu instid0(VALU_DEP_1)
	v_add_f32_e32 v46, v76, v60
	ds_store_2addr_b64 v77, v[46:47], v[44:45] offset0:20 offset1:30
	v_dual_sub_f32 v45, v125, v61 :: v_dual_sub_f32 v44, v76, v60
	v_dual_sub_f32 v46, v78, v75 :: v_dual_sub_f32 v47, v79, v74
	ds_store_2addr_b64 v77, v[46:47], v[44:45] offset0:40 offset1:50
	global_wb scope:SCOPE_SE
	s_wait_storecnt_dscnt 0x0
	s_barrier_signal -1
	s_barrier_wait -1
	global_inv scope:SCOPE_SE
	s_clause 0x1
	global_load_b128 v[44:47], v[114:115], off offset:400
	global_load_b64 v[227:228], v[114:115], off offset:432
	ds_load_2addr_b64 v[60:63], v156 offset0:104 offset1:164
	ds_load_2addr_b64 v[110:113], v255 offset1:60
	s_wait_loadcnt_dscnt 0x101
	v_mul_f32_e32 v70, v61, v45
	v_mul_f32_e32 v171, v60, v45
	;; [unrolled: 1-line block ×3, first 2 shown]
	s_delay_alu instid0(VALU_DEP_3) | instskip(NEXT) | instid1(VALU_DEP_3)
	v_fma_f32 v170, v60, v44, -v70
	v_dual_mul_f32 v60, v63, v45 :: v_dual_fmac_f32 v171, v61, v44
	s_delay_alu instid0(VALU_DEP_3) | instskip(NEXT) | instid1(VALU_DEP_2)
	v_fmac_f32_e32 v152, v63, v44
	v_fma_f32 v151, v62, v44, -v60
	ds_load_2addr_b64 v[60:63], v157 offset0:80 offset1:140
	s_wait_dscnt 0x0
	v_mul_f32_e32 v70, v61, v47
	v_mul_f32_e32 v75, v60, v47
	;; [unrolled: 1-line block ×3, first 2 shown]
	s_delay_alu instid0(VALU_DEP_3) | instskip(NEXT) | instid1(VALU_DEP_3)
	v_fma_f32 v74, v60, v46, -v70
	v_dual_mul_f32 v60, v63, v47 :: v_dual_fmac_f32 v75, v61, v46
	s_delay_alu instid0(VALU_DEP_3)
	v_fmac_f32_e32 v154, v63, v46
	ds_load_2addr_b64 v[70:73], v158 offset0:56 offset1:116
	v_add_f32_e32 v66, v110, v74
	v_fma_f32 v155, v62, v46, -v60
	global_load_b128 v[60:63], v[114:115], off offset:416
	s_wait_loadcnt_dscnt 0x0
	v_mul_f32_e32 v76, v71, v61
	v_mul_f32_e32 v77, v70, v61
	;; [unrolled: 1-line block ×3, first 2 shown]
	s_delay_alu instid0(VALU_DEP_3) | instskip(NEXT) | instid1(VALU_DEP_3)
	v_fma_f32 v76, v70, v60, -v76
	v_dual_mul_f32 v70, v73, v61 :: v_dual_fmac_f32 v77, v71, v60
	s_delay_alu instid0(VALU_DEP_3) | instskip(NEXT) | instid1(VALU_DEP_3)
	v_fmac_f32_e32 v167, v73, v60
	v_add_f32_e32 v68, v170, v76
	s_delay_alu instid0(VALU_DEP_3)
	v_fma_f32 v168, v72, v60, -v70
	ds_load_2addr_b64 v[70:73], v159 offset0:160 offset1:220
	v_add_f32_e32 v69, v171, v77
	s_wait_dscnt 0x0
	v_mul_f32_e32 v78, v71, v63
	v_mul_f32_e32 v79, v70, v63
	;; [unrolled: 1-line block ×3, first 2 shown]
	s_delay_alu instid0(VALU_DEP_3) | instskip(NEXT) | instid1(VALU_DEP_3)
	v_fma_f32 v78, v70, v62, -v78
	v_dual_mul_f32 v70, v73, v63 :: v_dual_fmac_f32 v79, v71, v62
	s_delay_alu instid0(VALU_DEP_3) | instskip(NEXT) | instid1(VALU_DEP_3)
	v_fmac_f32_e32 v169, v73, v62
	v_add_f32_e32 v177, v66, v78
	s_delay_alu instid0(VALU_DEP_3) | instskip(SKIP_4) | instid1(VALU_DEP_3)
	v_fma_f32 v174, v72, v62, -v70
	ds_load_2addr_b64 v[70:73], v160 offset0:8 offset1:68
	v_add_f32_e32 v67, v74, v78
	v_sub_f32_e32 v176, v74, v78
	v_sub_f32_e32 v180, v75, v79
	v_fma_f32 v183, -0.5, v67, v110
	s_delay_alu instid0(VALU_DEP_1) | instskip(SKIP_4) | instid1(VALU_DEP_2)
	v_fmamk_f32 v187, v180, 0x3f5db3d7, v183
	v_fmac_f32_e32 v183, 0xbf5db3d7, v180
	s_wait_dscnt 0x0
	v_mul_f32_e32 v80, v71, v228
	v_mul_f32_e32 v172, v72, v228
	v_fma_f32 v80, v70, v227, -v80
	v_mul_f32_e32 v70, v70, v228
	s_delay_alu instid0(VALU_DEP_3) | instskip(NEXT) | instid1(VALU_DEP_3)
	v_fmac_f32_e32 v172, v73, v227
	v_add_f32_e32 v66, v76, v80
	s_delay_alu instid0(VALU_DEP_3) | instskip(SKIP_1) | instid1(VALU_DEP_3)
	v_dual_fmac_f32 v70, v71, v227 :: v_dual_sub_f32 v181, v76, v80
	v_add_f32_e32 v186, v68, v80
	v_dual_mul_f32 v71, v73, v228 :: v_dual_fmac_f32 v170, -0.5, v66
	s_delay_alu instid0(VALU_DEP_3) | instskip(SKIP_2) | instid1(VALU_DEP_4)
	v_add_f32_e32 v66, v77, v70
	v_sub_f32_e32 v185, v77, v70
	v_add_f32_e32 v189, v69, v70
	v_fma_f32 v173, v72, v227, -v71
	v_add_f32_e32 v71, v75, v79
	v_dual_fmac_f32 v171, -0.5, v66 :: v_dual_add_f32 v66, v111, v75
	v_fmamk_f32 v68, v185, 0x3f5db3d7, v170
	s_delay_alu instid0(VALU_DEP_3) | instskip(NEXT) | instid1(VALU_DEP_3)
	v_fma_f32 v184, -0.5, v71, v111
	v_add_f32_e32 v182, v66, v79
	s_delay_alu instid0(VALU_DEP_3) | instskip(NEXT) | instid1(VALU_DEP_3)
	v_dual_fmamk_f32 v66, v181, 0xbf5db3d7, v171 :: v_dual_mul_f32 v179, 0xbf5db3d7, v68
	v_fmamk_f32 v188, v176, 0xbf5db3d7, v184
	v_fmac_f32_e32 v171, 0x3f5db3d7, v181
	s_delay_alu instid0(VALU_DEP_3) | instskip(NEXT) | instid1(VALU_DEP_4)
	v_dual_add_f32 v191, v182, v189 :: v_dual_mul_f32 v178, 0x3f5db3d7, v66
	v_dual_fmac_f32 v179, 0.5, v66 :: v_dual_and_b32 v66, 0xffff, v65
	s_wait_alu 0xf1ff
	v_add_co_ci_u32_e64 v65, null, s1, 0, s2
	s_delay_alu instid0(VALU_DEP_3)
	v_fmac_f32_e32 v178, 0.5, v68
	v_mad_co_u64_u32 v[68:69], null, v175, 40, s[0:1]
	s_clause 0x2
	global_load_b64 v[198:199], v[68:69], off offset:432
	global_load_b128 v[140:143], v[68:69], off offset:400
	global_load_b128 v[116:119], v[68:69], off offset:416
	v_mad_co_u64_u32 v[68:69], null, v153, 40, s[0:1]
	v_add_co_u32 v66, s2, s0, v66
	s_wait_alu 0xf1ff
	v_add_co_ci_u32_e64 v67, null, s1, 0, s2
	s_clause 0x8
	global_load_b64 v[200:201], v[68:69], off offset:432
	global_load_b128 v[92:95], v[68:69], off offset:416
	global_load_b128 v[136:139], v[68:69], off offset:400
	global_load_b64 v[196:197], v[64:65], off offset:432
	global_load_b128 v[80:83], v[64:65], off offset:400
	global_load_b128 v[72:75], v[64:65], off offset:416
	global_load_b64 v[194:195], v[66:67], off offset:432
	global_load_b128 v[76:79], v[66:67], off offset:400
	global_load_b128 v[64:67], v[66:67], off offset:416
	v_add_f32_e32 v193, v188, v179
	ds_load_2addr_b64 v[108:111], v255 offset0:120 offset1:180
	ds_load_2addr_b64 v[144:147], v163 offset0:96 offset1:156
	;; [unrolled: 1-line block ×12, first 2 shown]
	v_add_f32_e32 v190, v177, v186
	v_add_f32_e32 v192, v187, v178
	v_fmac_f32_e32 v170, 0xbf5db3d7, v185
	global_wb scope:SCOPE_SE
	s_wait_loadcnt_dscnt 0x0
	s_barrier_signal -1
	s_barrier_wait -1
	global_inv scope:SCOPE_SE
	ds_store_2addr_b64 v255, v[190:191], v[192:193] offset1:60
	v_sub_f32_e32 v190, v177, v186
	v_fmac_f32_e32 v184, 0x3f5db3d7, v176
	v_dual_mul_f32 v176, -0.5, v170 :: v_dual_mul_f32 v177, -0.5, v171
	s_delay_alu instid0(VALU_DEP_1) | instskip(NEXT) | instid1(VALU_DEP_1)
	v_dual_sub_f32 v191, v182, v189 :: v_dual_fmac_f32 v176, 0x3f5db3d7, v171
	v_dual_fmac_f32 v177, 0xbf5db3d7, v170 :: v_dual_add_f32 v170, v183, v176
	s_delay_alu instid0(VALU_DEP_1)
	v_dual_add_f32 v171, v184, v177 :: v_dual_sub_f32 v176, v183, v176
	v_sub_f32_e32 v177, v184, v177
	ds_store_2addr_b64 v255, v[170:171], v[190:191] offset0:120 offset1:180
	v_dual_sub_f32 v170, v187, v178 :: v_dual_sub_f32 v171, v188, v179
	v_dual_add_f32 v178, v152, v167 :: v_dual_sub_f32 v179, v154, v169
	ds_store_2addr_b64 v166, v[170:171], v[176:177] offset0:112 offset1:172
	v_dual_add_f32 v170, v112, v155 :: v_dual_add_f32 v171, v155, v174
	v_dual_sub_f32 v176, v155, v174 :: v_dual_add_f32 v155, v154, v169
	s_delay_alu instid0(VALU_DEP_2) | instskip(SKIP_1) | instid1(VALU_DEP_4)
	v_dual_add_f32 v177, v151, v168 :: v_dual_add_f32 v170, v170, v174
	v_add_f32_e32 v174, v113, v154
	v_fma_f32 v112, -0.5, v171, v112
	s_delay_alu instid0(VALU_DEP_4) | instskip(SKIP_1) | instid1(VALU_DEP_4)
	v_fmac_f32_e32 v113, -0.5, v155
	v_add_f32_e32 v155, v168, v173
	v_add_f32_e32 v169, v174, v169
	v_sub_f32_e32 v174, v168, v173
	v_add_f32_e32 v173, v177, v173
	s_delay_alu instid0(VALU_DEP_4) | instskip(SKIP_3) | instid1(VALU_DEP_3)
	v_fmac_f32_e32 v151, -0.5, v155
	v_add_f32_e32 v155, v167, v172
	v_sub_f32_e32 v177, v167, v172
	v_dual_add_f32 v172, v178, v172 :: v_dual_fmamk_f32 v171, v179, 0x3f5db3d7, v112
	v_dual_fmamk_f32 v181, v176, 0xbf5db3d7, v113 :: v_dual_fmac_f32 v152, -0.5, v155
	s_delay_alu instid0(VALU_DEP_3) | instskip(SKIP_2) | instid1(VALU_DEP_4)
	v_fmamk_f32 v155, v177, 0x3f5db3d7, v151
	v_dual_fmac_f32 v151, 0xbf5db3d7, v177 :: v_dual_fmac_f32 v112, 0xbf5db3d7, v179
	v_fmac_f32_e32 v113, 0x3f5db3d7, v176
	v_fmamk_f32 v154, v174, 0xbf5db3d7, v152
	s_delay_alu instid0(VALU_DEP_4) | instskip(SKIP_1) | instid1(VALU_DEP_3)
	v_mul_f32_e32 v180, 0xbf5db3d7, v155
	v_fmac_f32_e32 v152, 0x3f5db3d7, v174
	v_mul_f32_e32 v178, 0x3f5db3d7, v154
	s_delay_alu instid0(VALU_DEP_3) | instskip(SKIP_1) | instid1(VALU_DEP_3)
	v_fmac_f32_e32 v180, 0.5, v154
	v_add_f32_e32 v154, v170, v173
	v_dual_fmac_f32 v178, 0.5, v155 :: v_dual_add_f32 v155, v169, v172
	s_delay_alu instid0(VALU_DEP_1) | instskip(SKIP_3) | instid1(VALU_DEP_2)
	v_dual_add_f32 v168, v181, v180 :: v_dual_add_f32 v167, v171, v178
	ds_store_2addr_b64 v156, v[154:155], v[167:168] offset0:104 offset1:164
	v_dual_mul_f32 v167, -0.5, v151 :: v_dual_mul_f32 v168, -0.5, v152
	v_dual_sub_f32 v154, v170, v173 :: v_dual_sub_f32 v155, v169, v172
	v_dual_fmac_f32 v167, 0x3f5db3d7, v152 :: v_dual_lshlrev_b32 v170, 3, v175
	s_delay_alu instid0(VALU_DEP_3) | instskip(NEXT) | instid1(VALU_DEP_2)
	v_fmac_f32_e32 v168, 0xbf5db3d7, v151
	v_add_nc_u32_e32 v169, 0x1400, v170
	s_delay_alu instid0(VALU_DEP_2)
	v_dual_add_f32 v151, v112, v167 :: v_dual_add_f32 v152, v113, v168
	v_dual_sub_f32 v113, v113, v168 :: v_dual_sub_f32 v112, v112, v167
	ds_store_2addr_b64 v163, v[151:152], v[154:155] offset0:96 offset1:156
	v_dual_sub_f32 v151, v171, v178 :: v_dual_sub_f32 v152, v181, v180
	ds_store_2addr_b64 v162, v[151:152], v[112:113] offset0:88 offset1:148
	scratch_store_b64 off, v[198:199], off offset:396 ; 8-byte Folded Spill
	v_mul_f32_e32 v112, v133, v143
	v_mul_f32_e32 v113, v125, v119
	v_mul_f32_e32 v155, v145, v141
	scratch_store_b64 off, v[200:201], off offset:404 ; 8-byte Folded Spill
	v_fma_f32 v112, v132, v142, -v112
	v_fma_f32 v113, v124, v118, -v113
	;; [unrolled: 1-line block ×3, first 2 shown]
	v_mul_f32_e32 v124, v124, v119
	scratch_store_b64 off, v[196:197], off offset:388 ; 8-byte Folded Spill
	v_add_f32_e32 v151, v108, v112
	v_add_f32_e32 v152, v112, v113
	v_sub_f32_e32 v154, v112, v113
	v_mul_f32_e32 v112, v129, v117
	s_delay_alu instid0(VALU_DEP_4) | instskip(SKIP_2) | instid1(VALU_DEP_4)
	v_dual_fmac_f32 v124, v125, v118 :: v_dual_add_f32 v151, v151, v113
	v_mul_f32_e32 v113, v121, v199
	v_fma_f32 v152, -0.5, v152, v108
	v_fma_f32 v112, v128, v116, -v112
	v_mul_f32_e32 v128, v128, v117
	s_delay_alu instid0(VALU_DEP_4) | instskip(SKIP_1) | instid1(VALU_DEP_4)
	v_fma_f32 v113, v120, v198, -v113
	v_mul_f32_e32 v120, v120, v199
	v_add_f32_e32 v168, v155, v112
	s_delay_alu instid0(VALU_DEP_3) | instskip(NEXT) | instid1(VALU_DEP_3)
	v_dual_fmac_f32 v128, v129, v116 :: v_dual_add_f32 v167, v112, v113
	v_dual_fmac_f32 v120, v121, v198 :: v_dual_mul_f32 v121, v144, v141
	s_delay_alu instid0(VALU_DEP_2) | instskip(NEXT) | instid1(VALU_DEP_2)
	v_fmac_f32_e32 v155, -0.5, v167
	v_add_f32_e32 v129, v128, v120
	s_delay_alu instid0(VALU_DEP_3) | instskip(NEXT) | instid1(VALU_DEP_1)
	v_fmac_f32_e32 v121, v145, v140
	v_dual_add_f32 v144, v121, v128 :: v_dual_fmac_f32 v121, -0.5, v129
	v_mul_f32_e32 v129, v132, v143
	v_sub_f32_e32 v128, v128, v120
	s_delay_alu instid0(VALU_DEP_2) | instskip(SKIP_1) | instid1(VALU_DEP_2)
	v_dual_add_f32 v120, v144, v120 :: v_dual_fmac_f32 v129, v133, v142
	v_add_f32_e32 v133, v168, v113
	v_add_f32_e32 v125, v109, v129
	v_sub_f32_e32 v132, v129, v124
	s_delay_alu instid0(VALU_DEP_3) | instskip(NEXT) | instid1(VALU_DEP_3)
	v_dual_add_f32 v129, v129, v124 :: v_dual_add_f32 v108, v151, v133
	v_dual_add_f32 v124, v125, v124 :: v_dual_sub_f32 v125, v112, v113
	v_fmamk_f32 v113, v128, 0x3f5db3d7, v155
	s_delay_alu instid0(VALU_DEP_3) | instskip(SKIP_1) | instid1(VALU_DEP_4)
	v_fma_f32 v129, -0.5, v129, v109
	v_fmamk_f32 v167, v132, 0x3f5db3d7, v152
	v_dual_add_f32 v109, v124, v120 :: v_dual_fmamk_f32 v112, v125, 0xbf5db3d7, v121
	s_delay_alu instid0(VALU_DEP_3) | instskip(SKIP_1) | instid1(VALU_DEP_3)
	v_dual_mul_f32 v145, 0xbf5db3d7, v113 :: v_dual_fmamk_f32 v168, v154, 0xbf5db3d7, v129
	v_fmac_f32_e32 v155, 0xbf5db3d7, v128
	v_dual_fmac_f32 v121, 0x3f5db3d7, v125 :: v_dual_mul_f32 v144, 0x3f5db3d7, v112
	s_delay_alu instid0(VALU_DEP_3) | instskip(SKIP_2) | instid1(VALU_DEP_4)
	v_fmac_f32_e32 v145, 0.5, v112
	v_fmac_f32_e32 v152, 0xbf5db3d7, v132
	v_fmac_f32_e32 v129, 0x3f5db3d7, v154
	v_dual_mul_f32 v125, v126, v95 :: v_dual_fmac_f32 v144, 0.5, v113
	s_delay_alu instid0(VALU_DEP_4) | instskip(NEXT) | instid1(VALU_DEP_2)
	v_add_f32_e32 v113, v168, v145
	v_fmac_f32_e32 v125, v127, v94
	s_delay_alu instid0(VALU_DEP_3) | instskip(SKIP_4) | instid1(VALU_DEP_3)
	v_add_f32_e32 v112, v167, v144
	ds_store_2addr_b64 v169, v[108:109], v[112:113] offset0:80 offset1:140
	v_dual_sub_f32 v109, v124, v120 :: v_dual_mul_f32 v120, -0.5, v155
	v_sub_f32_e32 v108, v151, v133
	v_add_nc_u32_e32 v124, 0x1800, v170
	v_fmac_f32_e32 v120, 0x3f5db3d7, v121
	s_delay_alu instid0(VALU_DEP_1) | instskip(NEXT) | instid1(VALU_DEP_1)
	v_dual_mul_f32 v121, -0.5, v121 :: v_dual_add_f32 v112, v152, v120
	v_fmac_f32_e32 v121, 0xbf5db3d7, v155
	s_delay_alu instid0(VALU_DEP_1)
	v_add_f32_e32 v113, v129, v121
	ds_store_2addr_b64 v124, v[112:113], v[108:109] offset0:72 offset1:132
	v_dual_sub_f32 v108, v167, v144 :: v_dual_sub_f32 v109, v168, v145
	v_dual_sub_f32 v112, v152, v120 :: v_dual_sub_f32 v113, v129, v121
	v_mul_f32_e32 v121, v146, v137
	ds_store_2addr_b64 v124, v[108:109], v[112:113] offset0:192 offset1:252
	v_mul_f32_e32 v124, v127, v95
	v_dual_mul_f32 v108, v147, v137 :: v_dual_mul_f32 v109, v134, v139
	v_mul_f32_e32 v112, v131, v93
	v_mul_f32_e32 v113, v130, v93
	s_delay_alu instid0(VALU_DEP_4)
	v_fma_f32 v124, v126, v94, -v124
	v_mul_f32_e32 v126, v123, v201
	v_fma_f32 v120, v146, v136, -v108
	v_mul_f32_e32 v108, v135, v139
	v_fmac_f32_e32 v109, v135, v138
	v_fma_f32 v112, v130, v92, -v112
	v_fma_f32 v126, v122, v200, -v126
	v_mul_f32_e32 v122, v122, v201
	v_fma_f32 v108, v134, v138, -v108
	v_add_f32_e32 v127, v111, v109
	v_fmac_f32_e32 v113, v131, v92
	v_fmac_f32_e32 v121, v147, v136
	v_dual_fmac_f32 v122, v123, v200 :: v_dual_add_f32 v123, v109, v125
	v_add_f32_e32 v128, v108, v124
	s_delay_alu instid0(VALU_DEP_3) | instskip(SKIP_1) | instid1(VALU_DEP_4)
	v_dual_add_f32 v129, v120, v112 :: v_dual_add_f32 v130, v121, v113
	v_sub_f32_e32 v131, v109, v125
	v_fmac_f32_e32 v111, -0.5, v123
	v_add_f32_e32 v123, v110, v108
	v_add_f32_e32 v125, v127, v125
	v_sub_f32_e32 v127, v112, v126
	v_fma_f32 v110, -0.5, v128, v110
	v_lshlrev_b32_e32 v135, 3, v153
	v_add_f32_e32 v123, v123, v124
	v_sub_f32_e32 v124, v108, v124
	v_add_f32_e32 v108, v112, v126
	v_add_f32_e32 v126, v129, v126
	v_dual_sub_f32 v129, v113, v122 :: v_dual_fmamk_f32 v128, v131, 0x3f5db3d7, v110
	s_delay_alu instid0(VALU_DEP_3)
	v_dual_fmamk_f32 v133, v124, 0xbf5db3d7, v111 :: v_dual_fmac_f32 v120, -0.5, v108
	v_add_f32_e32 v108, v113, v122
	v_add_f32_e32 v122, v130, v122
	v_add_nc_u32_e32 v134, 0x2000, v135
	v_fmac_f32_e32 v110, 0xbf5db3d7, v131
	v_fmamk_f32 v109, v129, 0x3f5db3d7, v120
	v_dual_fmac_f32 v121, -0.5, v108 :: v_dual_fmac_f32 v120, 0xbf5db3d7, v129
	v_fmac_f32_e32 v111, 0x3f5db3d7, v124
	s_delay_alu instid0(VALU_DEP_3) | instskip(NEXT) | instid1(VALU_DEP_3)
	v_mul_f32_e32 v132, 0xbf5db3d7, v109
	v_fmamk_f32 v108, v127, 0xbf5db3d7, v121
	s_delay_alu instid0(VALU_DEP_1) | instskip(NEXT) | instid1(VALU_DEP_3)
	v_dual_fmac_f32 v121, 0x3f5db3d7, v127 :: v_dual_mul_f32 v130, 0x3f5db3d7, v108
	v_fmac_f32_e32 v132, 0.5, v108
	v_add_f32_e32 v108, v123, v126
	s_delay_alu instid0(VALU_DEP_3) | instskip(NEXT) | instid1(VALU_DEP_1)
	v_dual_fmac_f32 v130, 0.5, v109 :: v_dual_add_f32 v109, v125, v122
	v_dual_add_f32 v113, v133, v132 :: v_dual_add_f32 v112, v128, v130
	ds_store_2addr_b64 v134, v[108:109], v[112:113] offset0:56 offset1:116
	v_dual_sub_f32 v109, v125, v122 :: v_dual_mul_f32 v122, -0.5, v120
	v_sub_f32_e32 v108, v123, v126
	s_delay_alu instid0(VALU_DEP_2) | instskip(NEXT) | instid1(VALU_DEP_1)
	v_fmac_f32_e32 v122, 0x3f5db3d7, v121
	v_dual_mul_f32 v121, -0.5, v121 :: v_dual_add_f32 v112, v110, v122
	s_delay_alu instid0(VALU_DEP_1) | instskip(NEXT) | instid1(VALU_DEP_1)
	v_fmac_f32_e32 v121, 0xbf5db3d7, v120
	v_add_f32_e32 v113, v111, v121
	ds_store_2addr_b64 v134, v[112:113], v[108:109] offset0:176 offset1:236
	v_dual_sub_f32 v109, v111, v121 :: v_dual_sub_f32 v108, v110, v122
	v_dual_sub_f32 v110, v128, v130 :: v_dual_sub_f32 v111, v133, v132
	v_dual_mul_f32 v113, v105, v81 :: v_dual_add_nc_u32 v112, 0x2800, v135
	ds_store_2addr_b64 v112, v[110:111], v[108:109] offset0:40 offset1:100
	v_mul_f32_e32 v108, v101, v83
	v_mul_f32_e32 v109, v89, v75
	;; [unrolled: 1-line block ×3, first 2 shown]
	v_fma_f32 v113, v104, v80, -v113
	s_delay_alu instid0(VALU_DEP_4) | instskip(NEXT) | instid1(VALU_DEP_4)
	v_fma_f32 v108, v100, v82, -v108
	v_fma_f32 v109, v88, v74, -v109
	s_delay_alu instid0(VALU_DEP_4)
	v_fma_f32 v112, v84, v196, -v112
	v_mul_f32_e32 v84, v84, v197
	v_mul_f32_e32 v88, v88, v75
	v_add_f32_e32 v110, v68, v108
	v_add_f32_e32 v111, v108, v109
	v_sub_f32_e32 v108, v108, v109
	v_fmac_f32_e32 v84, v85, v196
	v_fmac_f32_e32 v88, v89, v74
	v_add_f32_e32 v110, v110, v109
	v_mul_f32_e32 v109, v97, v73
	v_fma_f32 v111, -0.5, v111, v68
	s_delay_alu instid0(VALU_DEP_2) | instskip(SKIP_1) | instid1(VALU_DEP_2)
	v_fma_f32 v109, v96, v72, -v109
	v_mul_f32_e32 v96, v96, v73
	v_add_f32_e32 v120, v109, v112
	s_delay_alu instid0(VALU_DEP_2) | instskip(SKIP_1) | instid1(VALU_DEP_3)
	v_dual_fmac_f32 v96, v97, v72 :: v_dual_mul_f32 v97, v104, v81
	v_add_f32_e32 v121, v113, v109
	v_fmac_f32_e32 v113, -0.5, v120
	s_delay_alu instid0(VALU_DEP_3) | instskip(NEXT) | instid1(VALU_DEP_4)
	v_add_f32_e32 v85, v96, v84
	v_fmac_f32_e32 v97, v105, v80
	s_delay_alu instid0(VALU_DEP_1) | instskip(SKIP_2) | instid1(VALU_DEP_2)
	v_dual_add_f32 v104, v97, v96 :: v_dual_fmac_f32 v97, -0.5, v85
	v_mul_f32_e32 v85, v100, v83
	v_sub_f32_e32 v96, v96, v84
	v_dual_add_f32 v104, v104, v84 :: v_dual_fmac_f32 v85, v101, v82
	s_delay_alu instid0(VALU_DEP_2)
	v_fmamk_f32 v105, v96, 0x3f5db3d7, v113
	v_add_f32_e32 v101, v121, v112
	v_fmac_f32_e32 v113, 0xbf5db3d7, v96
	scratch_store_b32 off, v170, off offset:348 ; 4-byte Folded Spill
	v_add_f32_e32 v89, v69, v85
	v_sub_f32_e32 v100, v85, v88
	v_dual_add_f32 v85, v85, v88 :: v_dual_add_f32 v68, v110, v101
	s_delay_alu instid0(VALU_DEP_3) | instskip(SKIP_1) | instid1(VALU_DEP_3)
	v_add_f32_e32 v88, v89, v88
	v_sub_f32_e32 v89, v109, v112
	v_fma_f32 v112, -0.5, v85, v69
	v_fmamk_f32 v120, v100, 0x3f5db3d7, v111
	v_fmac_f32_e32 v111, 0xbf5db3d7, v100
	s_delay_alu instid0(VALU_DEP_4) | instskip(NEXT) | instid1(VALU_DEP_4)
	v_dual_add_f32 v69, v88, v104 :: v_dual_fmamk_f32 v84, v89, 0xbf5db3d7, v97
	v_fmamk_f32 v121, v108, 0xbf5db3d7, v112
	v_dual_fmac_f32 v97, 0x3f5db3d7, v89 :: v_dual_fmac_f32 v112, 0x3f5db3d7, v108
	s_delay_alu instid0(VALU_DEP_3) | instskip(NEXT) | instid1(VALU_DEP_2)
	v_mul_f32_e32 v109, 0x3f5db3d7, v84
	v_mul_f32_e32 v89, -0.5, v97
	s_delay_alu instid0(VALU_DEP_2) | instskip(SKIP_1) | instid1(VALU_DEP_3)
	v_fmac_f32_e32 v109, 0.5, v105
	v_mul_f32_e32 v105, 0xbf5db3d7, v105
	v_fmac_f32_e32 v89, 0xbf5db3d7, v113
	s_delay_alu instid0(VALU_DEP_2) | instskip(NEXT) | instid1(VALU_DEP_1)
	v_dual_fmac_f32 v105, 0.5, v84 :: v_dual_and_b32 v84, 0xffff, v150
	v_add_f32_e32 v85, v121, v105
	s_delay_alu instid0(VALU_DEP_2)
	v_dual_add_f32 v84, v120, v109 :: v_dual_lshlrev_b32 v123, 3, v84
	s_clause 0x1
	scratch_store_b32 off, v135, off offset:352
	scratch_store_b32 off, v123, off offset:372
	v_add_nc_u32_e32 v122, 0x2800, v123
	v_add_nc_u32_e32 v96, 0x3000, v123
	ds_store_2addr_b64 v122, v[68:69], v[84:85] offset0:160 offset1:220
	v_dual_sub_f32 v69, v88, v104 :: v_dual_mul_f32 v88, -0.5, v113
	v_sub_f32_e32 v68, v110, v101
	v_add_f32_e32 v85, v112, v89
	s_delay_alu instid0(VALU_DEP_3) | instskip(NEXT) | instid1(VALU_DEP_1)
	v_fmac_f32_e32 v88, 0x3f5db3d7, v97
	v_add_f32_e32 v84, v111, v88
	ds_store_2addr_b64 v96, v[84:85], v[68:69] offset0:24 offset1:84
	v_sub_f32_e32 v68, v120, v109
	v_dual_sub_f32 v69, v121, v105 :: v_dual_sub_f32 v84, v111, v88
	v_sub_f32_e32 v85, v112, v89
	v_mul_f32_e32 v89, v106, v77
	ds_store_2addr_b64 v96, v[68:69], v[84:85] offset0:144 offset1:204
	v_mul_f32_e32 v96, v91, v67
	v_dual_mul_f32 v68, v107, v77 :: v_dual_mul_f32 v69, v102, v79
	v_mul_f32_e32 v84, v99, v65
	v_mul_f32_e32 v85, v98, v65
	s_delay_alu instid0(VALU_DEP_4)
	v_fma_f32 v96, v90, v66, -v96
	v_mul_f32_e32 v90, v90, v67
	v_fma_f32 v88, v106, v76, -v68
	v_mul_f32_e32 v68, v103, v79
	v_fmac_f32_e32 v69, v103, v78
	v_fma_f32 v84, v98, v64, -v84
	v_fmac_f32_e32 v90, v91, v66
	v_mul_f32_e32 v91, v87, v195
	v_fma_f32 v68, v102, v78, -v68
	v_add_f32_e32 v97, v71, v69
	v_fmac_f32_e32 v85, v99, v64
	v_fmac_f32_e32 v89, v107, v76
	v_fma_f32 v91, v86, v194, -v91
	v_mul_f32_e32 v86, v86, v195
	v_add_f32_e32 v98, v68, v96
	s_delay_alu instid0(VALU_DEP_4) | instskip(SKIP_1) | instid1(VALU_DEP_4)
	v_dual_add_f32 v99, v88, v84 :: v_dual_add_f32 v100, v89, v85
	v_sub_f32_e32 v101, v69, v90
	v_fmac_f32_e32 v86, v87, v194
	v_add_f32_e32 v87, v69, v90
	v_dual_add_f32 v90, v97, v90 :: v_dual_sub_f32 v97, v84, v91
	s_delay_alu instid0(VALU_DEP_2) | instskip(SKIP_2) | instid1(VALU_DEP_2)
	v_fmac_f32_e32 v71, -0.5, v87
	v_add_f32_e32 v87, v70, v68
	v_fma_f32 v70, -0.5, v98, v70
	v_add_f32_e32 v87, v87, v96
	v_sub_f32_e32 v96, v68, v96
	v_add_f32_e32 v68, v84, v91
	v_add_f32_e32 v91, v99, v91
	v_dual_sub_f32 v99, v85, v86 :: v_dual_and_b32 v84, 0xffff, v149
	v_fmamk_f32 v98, v101, 0x3f5db3d7, v70
	s_delay_alu instid0(VALU_DEP_4) | instskip(SKIP_1) | instid1(VALU_DEP_4)
	v_fmac_f32_e32 v88, -0.5, v68
	v_add_f32_e32 v68, v85, v86
	v_dual_add_f32 v86, v100, v86 :: v_dual_lshlrev_b32 v105, 3, v84
	v_fmamk_f32 v103, v96, 0xbf5db3d7, v71
	s_delay_alu instid0(VALU_DEP_4) | instskip(NEXT) | instid1(VALU_DEP_4)
	v_fmamk_f32 v69, v99, 0x3f5db3d7, v88
	v_dual_fmac_f32 v89, -0.5, v68 :: v_dual_fmac_f32 v88, 0xbf5db3d7, v99
	s_delay_alu instid0(VALU_DEP_4) | instskip(SKIP_1) | instid1(VALU_DEP_4)
	v_add_nc_u32_e32 v104, 0x3800, v105
	v_fmac_f32_e32 v70, 0xbf5db3d7, v101
	v_mul_f32_e32 v102, 0xbf5db3d7, v69
	s_delay_alu instid0(VALU_DEP_4) | instskip(SKIP_3) | instid1(VALU_DEP_4)
	v_fmamk_f32 v68, v97, 0xbf5db3d7, v89
	v_fmac_f32_e32 v89, 0x3f5db3d7, v97
	v_fmac_f32_e32 v71, 0x3f5db3d7, v96
	v_mad_co_u64_u32 v[148:149], null, v148, 40, s[0:1]
	v_mul_f32_e32 v100, 0x3f5db3d7, v68
	v_fmac_f32_e32 v102, 0.5, v68
	v_add_f32_e32 v68, v87, v91
	s_clause 0x1
	scratch_store_b64 off, v[194:195], off offset:376
	scratch_store_b32 off, v105, off offset:384
	v_dual_fmac_f32 v100, 0.5, v69 :: v_dual_add_f32 v69, v90, v86
	v_add_f32_e32 v85, v103, v102
	s_add_nc_u64 s[0:1], s[12:13], 0x4380
	s_delay_alu instid0(VALU_DEP_2) | instskip(SKIP_3) | instid1(VALU_DEP_1)
	v_add_f32_e32 v84, v98, v100
	ds_store_2addr_b64 v104, v[68:69], v[84:85] offset0:8 offset1:68
	v_dual_sub_f32 v68, v87, v91 :: v_dual_sub_f32 v69, v90, v86
	v_dual_mul_f32 v86, -0.5, v88 :: v_dual_mul_f32 v87, -0.5, v89
	v_fmac_f32_e32 v86, 0x3f5db3d7, v89
	s_delay_alu instid0(VALU_DEP_1) | instskip(NEXT) | instid1(VALU_DEP_1)
	v_dual_fmac_f32 v87, 0xbf5db3d7, v88 :: v_dual_add_f32 v84, v70, v86
	v_add_f32_e32 v85, v71, v87
	ds_store_2addr_b64 v104, v[84:85], v[68:69] offset0:128 offset1:188
	v_dual_sub_f32 v69, v71, v87 :: v_dual_sub_f32 v68, v70, v86
	v_dual_sub_f32 v70, v98, v100 :: v_dual_sub_f32 v71, v103, v102
	v_add_nc_u32_e32 v84, 0x3c00, v105
	ds_store_2addr_b64 v84, v[70:71], v[68:69] offset0:120 offset1:180
	global_wb scope:SCOPE_SE
	s_wait_storecnt_dscnt 0x0
	s_barrier_signal -1
	s_barrier_wait -1
	global_inv scope:SCOPE_SE
	s_clause 0x5
	global_load_b128 v[68:71], v[114:115], off offset:2800
	global_load_b128 v[132:135], v[114:115], off offset:2816
	;; [unrolled: 1-line block ×3, first 2 shown]
	global_load_b64 v[89:90], v[114:115], off offset:2832
	global_load_b128 v[124:127], v[148:149], off offset:2816
	global_load_b128 v[128:131], v[148:149], off offset:5200
	ds_load_2addr_b64 v[84:87], v156 offset0:104 offset1:164
	s_clause 0x4
	global_load_b128 v[100:103], v[148:149], off offset:7600
	global_load_b64 v[245:246], v[148:149], off offset:5232
	global_load_b128 v[104:107], v[148:149], off offset:7616
	global_load_b64 v[247:248], v[148:149], off offset:7632
	global_load_b128 v[108:111], v[148:149], off offset:10000
	ds_load_2addr_b64 v[144:147], v159 offset0:40 offset1:100
	global_load_b128 v[112:115], v[148:149], off offset:5216
	s_wait_loadcnt_dscnt 0xb01
	v_mul_f32_e32 v88, v85, v69
	v_mul_f32_e32 v153, v84, v69
	s_wait_loadcnt 0x9
	v_mul_f32_e32 v176, v86, v121
	s_wait_loadcnt 0x8
	scratch_store_b64 off, v[89:90], off offset:356 ; 8-byte Folded Spill
	v_fma_f32 v152, v84, v68, -v88
	v_dual_mul_f32 v84, v87, v121 :: v_dual_fmac_f32 v153, v85, v68
	v_fmac_f32_e32 v176, v87, v120
	s_delay_alu instid0(VALU_DEP_2)
	v_fma_f32 v175, v86, v120, -v84
	ds_load_2addr_b64 v[84:87], v157 offset0:80 offset1:140
	s_wait_dscnt 0x0
	v_mul_f32_e32 v88, v85, v71
	v_mul_f32_e32 v151, v84, v71
	;; [unrolled: 1-line block ×3, first 2 shown]
	s_delay_alu instid0(VALU_DEP_3) | instskip(NEXT) | instid1(VALU_DEP_3)
	v_fma_f32 v150, v84, v70, -v88
	v_dual_mul_f32 v84, v87, v123 :: v_dual_fmac_f32 v151, v85, v70
	s_delay_alu instid0(VALU_DEP_3) | instskip(NEXT) | instid1(VALU_DEP_2)
	v_fmac_f32_e32 v201, v87, v122
	v_fma_f32 v202, v86, v122, -v84
	ds_load_2addr_b64 v[84:87], v158 offset0:56 offset1:116
	s_wait_dscnt 0x0
	v_mul_f32_e32 v88, v85, v133
	v_mul_f32_e32 v222, v84, v133
	s_wait_loadcnt 0x7
	v_mul_f32_e32 v205, v86, v125
	s_delay_alu instid0(VALU_DEP_3) | instskip(SKIP_2) | instid1(VALU_DEP_4)
	v_fma_f32 v219, v84, v132, -v88
	v_mul_f32_e32 v84, v87, v125
	v_fmac_f32_e32 v222, v85, v132
	v_fmac_f32_e32 v205, v87, v124
	s_delay_alu instid0(VALU_DEP_4) | instskip(NEXT) | instid1(VALU_DEP_4)
	v_add_f32_e32 v215, v152, v219
	v_fma_f32 v206, v86, v124, -v84
	ds_load_2addr_b64 v[84:87], v159 offset0:160 offset1:220
	s_wait_dscnt 0x0
	v_mul_f32_e32 v88, v85, v135
	v_mul_f32_e32 v224, v84, v135
	;; [unrolled: 1-line block ×3, first 2 shown]
	s_delay_alu instid0(VALU_DEP_3) | instskip(SKIP_1) | instid1(VALU_DEP_4)
	v_fma_f32 v223, v84, v134, -v88
	v_mul_f32_e32 v84, v87, v127
	v_fmac_f32_e32 v224, v85, v134
	s_delay_alu instid0(VALU_DEP_4) | instskip(NEXT) | instid1(VALU_DEP_3)
	v_fmac_f32_e32 v209, v87, v126
	v_fma_f32 v210, v86, v126, -v84
	ds_load_2addr_b64 v[84:87], v160 offset0:8 offset1:68
	s_wait_dscnt 0x0
	v_mul_f32_e32 v88, v85, v90
	v_mul_f32_e32 v226, v84, v90
	s_delay_alu instid0(VALU_DEP_2) | instskip(NEXT) | instid1(VALU_DEP_2)
	v_fma_f32 v225, v84, v89, -v88
	v_fmac_f32_e32 v226, v85, v89
	global_load_b64 v[88:89], v[148:149], off offset:2832
	v_add_f32_e32 v217, v215, v225
	s_wait_loadcnt 0x0
	v_dual_add_f32 v215, v153, v222 :: v_dual_mul_f32 v84, v87, v89
	v_mul_f32_e32 v211, v86, v89
	scratch_store_b64 off, v[88:89], off offset:364 ; 8-byte Folded Spill
	v_fma_f32 v212, v86, v88, -v84
	v_fmac_f32_e32 v211, v87, v88
	ds_load_2addr_b64 v[84:87], v163 offset0:96 offset1:156
	s_wait_dscnt 0x0
	v_mul_f32_e32 v88, v85, v129
	v_mul_f32_e32 v196, v84, v129
	;; [unrolled: 1-line block ×3, first 2 shown]
	s_delay_alu instid0(VALU_DEP_3) | instskip(SKIP_1) | instid1(VALU_DEP_4)
	v_fma_f32 v195, v84, v128, -v88
	v_mul_f32_e32 v84, v87, v101
	v_fmac_f32_e32 v196, v85, v128
	s_delay_alu instid0(VALU_DEP_4) | instskip(NEXT) | instid1(VALU_DEP_3)
	v_fmac_f32_e32 v168, v87, v100
	v_fma_f32 v154, v86, v100, -v84
	ds_load_2addr_b64 v[84:87], v161 offset0:72 offset1:132
	s_wait_dscnt 0x0
	v_mul_f32_e32 v88, v85, v131
	v_mul_f32_e32 v197, v84, v131
	;; [unrolled: 1-line block ×3, first 2 shown]
	s_delay_alu instid0(VALU_DEP_3) | instskip(NEXT) | instid1(VALU_DEP_3)
	v_fma_f32 v198, v84, v130, -v88
	v_dual_mul_f32 v84, v87, v103 :: v_dual_fmac_f32 v197, v85, v130
	s_delay_alu instid0(VALU_DEP_3) | instskip(NEXT) | instid1(VALU_DEP_2)
	v_fmac_f32_e32 v180, v87, v102
	v_fma_f32 v179, v86, v102, -v84
	ds_load_2addr_b64 v[84:87], v158 offset0:176 offset1:236
	s_wait_dscnt 0x0
	v_mul_f32_e32 v88, v85, v113
	v_mul_f32_e32 v214, v84, v113
	;; [unrolled: 1-line block ×3, first 2 shown]
	s_delay_alu instid0(VALU_DEP_3) | instskip(SKIP_1) | instid1(VALU_DEP_4)
	v_fma_f32 v213, v84, v112, -v88
	v_mul_f32_e32 v84, v87, v105
	v_fmac_f32_e32 v214, v85, v112
	s_delay_alu instid0(VALU_DEP_4) | instskip(NEXT) | instid1(VALU_DEP_3)
	v_fmac_f32_e32 v186, v87, v104
	v_fma_f32 v185, v86, v104, -v84
	ds_load_2addr_b64 v[84:87], v164 offset0:24 offset1:84
	s_wait_dscnt 0x0
	v_mul_f32_e32 v88, v85, v115
	v_mul_f32_e32 v188, v86, v107
	;; [unrolled: 1-line block ×3, first 2 shown]
	s_delay_alu instid0(VALU_DEP_3) | instskip(NEXT) | instid1(VALU_DEP_3)
	v_fma_f32 v204, v84, v114, -v88
	v_fmac_f32_e32 v188, v87, v106
	s_delay_alu instid0(VALU_DEP_3) | instskip(NEXT) | instid1(VALU_DEP_3)
	v_dual_mul_f32 v84, v87, v107 :: v_dual_fmac_f32 v203, v85, v114
	v_sub_f32_e32 v230, v198, v204
	s_delay_alu instid0(VALU_DEP_2)
	v_fma_f32 v187, v86, v106, -v84
	ds_load_2addr_b64 v[84:87], v160 offset0:128 offset1:188
	v_sub_f32_e32 v229, v197, v203
	s_wait_dscnt 0x0
	v_mul_f32_e32 v88, v85, v246
	v_mul_f32_e32 v208, v84, v246
	v_mul_f32_e32 v192, v86, v248
	s_delay_alu instid0(VALU_DEP_3) | instskip(SKIP_1) | instid1(VALU_DEP_3)
	v_fma_f32 v207, v84, v245, -v88
	v_mul_f32_e32 v84, v87, v248
	v_fmac_f32_e32 v192, v87, v247
	v_fmac_f32_e32 v208, v85, v245
	s_delay_alu instid0(VALU_DEP_3) | instskip(SKIP_4) | instid1(VALU_DEP_2)
	v_fma_f32 v191, v86, v247, -v84
	ds_load_2addr_b64 v[86:89], v162 offset0:88 offset1:148
	s_wait_dscnt 0x0
	v_mul_f32_e32 v84, v87, v109
	v_mul_f32_e32 v178, v86, v109
	v_fma_f32 v177, v86, v108, -v84
	s_delay_alu instid0(VALU_DEP_2) | instskip(SKIP_4) | instid1(VALU_DEP_2)
	v_fmac_f32_e32 v178, v87, v108
	global_load_b128 v[84:87], v[148:149], off offset:12400
	s_wait_loadcnt 0x0
	v_mul_f32_e32 v90, v89, v85
	v_mul_f32_e32 v167, v88, v85
	v_fma_f32 v155, v88, v84, -v90
	s_delay_alu instid0(VALU_DEP_2)
	v_fmac_f32_e32 v167, v89, v84
	ds_load_2addr_b64 v[88:91], v161 offset0:192 offset1:252
	s_wait_dscnt 0x0
	v_mul_f32_e32 v96, v89, v111
	v_mul_f32_e32 v181, v88, v111
	;; [unrolled: 1-line block ×3, first 2 shown]
	s_delay_alu instid0(VALU_DEP_3) | instskip(SKIP_3) | instid1(VALU_DEP_2)
	v_fma_f32 v182, v88, v110, -v96
	global_load_b128 v[96:99], v[148:149], off offset:10016
	v_dual_mul_f32 v88, v91, v87 :: v_dual_fmac_f32 v181, v89, v110
	v_fmac_f32_e32 v169, v91, v86
	v_fma_f32 v171, v90, v86, -v88
	s_wait_loadcnt 0x0
	v_mul_f32_e32 v88, v145, v97
	v_mul_f32_e32 v200, v144, v97
	s_delay_alu instid0(VALU_DEP_2)
	v_fma_f32 v199, v144, v96, -v88
	global_load_b128 v[88:91], v[148:149], off offset:12416
	v_fmac_f32_e32 v200, v145, v96
	s_wait_loadcnt 0x0
	v_mul_f32_e32 v144, v147, v89
	v_mul_f32_e32 v172, v146, v89
	s_delay_alu instid0(VALU_DEP_2) | instskip(NEXT) | instid1(VALU_DEP_2)
	v_fma_f32 v174, v146, v88, -v144
	v_fmac_f32_e32 v172, v147, v88
	ds_load_2addr_b64 v[144:147], v164 offset0:144 offset1:204
	s_clause 0x1
	global_load_b64 v[220:221], v[148:149], off offset:10032
	global_load_b64 v[249:250], v[148:149], off offset:12432
	s_wait_dscnt 0x0
	v_mul_f32_e32 v170, v145, v99
	v_mul_f32_e32 v189, v144, v99
	s_delay_alu instid0(VALU_DEP_2) | instskip(SKIP_1) | instid1(VALU_DEP_3)
	v_fma_f32 v190, v144, v98, -v170
	v_mul_f32_e32 v144, v147, v91
	v_dual_mul_f32 v170, v146, v91 :: v_dual_fmac_f32 v189, v145, v98
	v_add_f32_e32 v218, v215, v226
	s_delay_alu instid0(VALU_DEP_3) | instskip(NEXT) | instid1(VALU_DEP_3)
	v_fma_f32 v183, v146, v90, -v144
	v_fmac_f32_e32 v170, v147, v90
	ds_load_2addr_b64 v[144:147], v165 offset0:120 offset1:180
	s_wait_loadcnt_dscnt 0x100
	v_mul_f32_e32 v148, v145, v221
	s_wait_loadcnt 0x0
	v_dual_mul_f32 v194, v144, v221 :: v_dual_mul_f32 v173, v146, v250
	s_delay_alu instid0(VALU_DEP_2) | instskip(SKIP_1) | instid1(VALU_DEP_3)
	v_fma_f32 v193, v144, v220, -v148
	v_mul_f32_e32 v144, v147, v250
	v_dual_fmac_f32 v173, v147, v249 :: v_dual_fmac_f32 v194, v145, v220
	s_delay_alu instid0(VALU_DEP_2) | instskip(SKIP_3) | instid1(VALU_DEP_1)
	v_fma_f32 v184, v146, v249, -v144
	ds_load_2addr_b64 v[146:149], v255 offset1:60
	s_wait_dscnt 0x0
	v_dual_add_f32 v144, v146, v150 :: v_dual_add_f32 v145, v147, v151
	v_dual_add_f32 v144, v144, v223 :: v_dual_add_f32 v145, v145, v224
	s_delay_alu instid0(VALU_DEP_1)
	v_dual_add_f32 v215, v144, v217 :: v_dual_add_f32 v216, v145, v218
	v_dual_sub_f32 v217, v144, v217 :: v_dual_sub_f32 v218, v145, v218
	v_sub_f32_e32 v144, v151, v224
	v_add_f32_e32 v145, v151, v224
	v_add_f32_e32 v151, v222, v226
	;; [unrolled: 1-line block ×3, first 2 shown]
	v_sub_f32_e32 v226, v222, v226
	s_delay_alu instid0(VALU_DEP_4) | instskip(NEXT) | instid1(VALU_DEP_4)
	v_fma_f32 v145, -0.5, v145, v147
	v_fmac_f32_e32 v153, -0.5, v151
	v_add_f32_e32 v151, v219, v225
	v_sub_f32_e32 v219, v219, v225
	v_sub_f32_e32 v225, v150, v223
	v_fma_f32 v146, -0.5, v224, v146
	s_delay_alu instid0(VALU_DEP_4) | instskip(NEXT) | instid1(VALU_DEP_4)
	v_fmac_f32_e32 v152, -0.5, v151
	v_fmamk_f32 v150, v219, 0xbf5db3d7, v153
	v_fmac_f32_e32 v153, 0x3f5db3d7, v219
	s_delay_alu instid0(VALU_DEP_4) | instskip(SKIP_1) | instid1(VALU_DEP_4)
	v_fmamk_f32 v147, v144, 0x3f5db3d7, v146
	v_fmac_f32_e32 v146, 0xbf5db3d7, v144
	v_dual_fmamk_f32 v151, v226, 0x3f5db3d7, v152 :: v_dual_mul_f32 v222, 0x3f5db3d7, v150
	v_fmac_f32_e32 v152, 0xbf5db3d7, v226
	v_fmamk_f32 v224, v225, 0xbf5db3d7, v145
	v_fmac_f32_e32 v145, 0x3f5db3d7, v225
	s_delay_alu instid0(VALU_DEP_4) | instskip(SKIP_1) | instid1(VALU_DEP_2)
	v_mul_f32_e32 v223, 0xbf5db3d7, v151
	v_fmac_f32_e32 v222, 0.5, v151
	v_dual_mul_f32 v144, -0.5, v152 :: v_dual_fmac_f32 v223, 0.5, v150
	s_delay_alu instid0(VALU_DEP_2) | instskip(SKIP_1) | instid1(VALU_DEP_3)
	v_add_f32_e32 v150, v147, v222
	v_dual_sub_f32 v222, v147, v222 :: v_dual_mul_f32 v147, -0.5, v153
	v_dual_fmac_f32 v144, 0x3f5db3d7, v153 :: v_dual_add_f32 v151, v224, v223
	v_sub_f32_e32 v223, v224, v223
	s_delay_alu instid0(VALU_DEP_3) | instskip(NEXT) | instid1(VALU_DEP_3)
	v_fmac_f32_e32 v147, 0xbf5db3d7, v152
	v_add_f32_e32 v152, v146, v144
	s_delay_alu instid0(VALU_DEP_2)
	v_dual_sub_f32 v224, v146, v144 :: v_dual_add_f32 v153, v145, v147
	v_sub_f32_e32 v225, v145, v147
	ds_load_2addr_b64 v[144:147], v255 offset0:120 offset1:180
	ds_store_b64 v255, v[150:151] offset:2880
	ds_store_b64 v255, v[152:153] offset:5760
	ds_load_2addr_b64 v[150:153], v166 offset0:112 offset1:172
	ds_store_b64 v255, v[217:218] offset:8640
	ds_store_b64 v255, v[222:223] offset:11520
	;; [unrolled: 1-line block ×3, first 2 shown]
	v_add_f32_e32 v217, v148, v202
	s_delay_alu instid0(VALU_DEP_1) | instskip(SKIP_1) | instid1(VALU_DEP_1)
	v_add_f32_e32 v219, v217, v210
	v_add_f32_e32 v217, v149, v201
	v_dual_add_f32 v222, v217, v209 :: v_dual_add_f32 v217, v175, v206
	s_delay_alu instid0(VALU_DEP_1) | instskip(SKIP_1) | instid1(VALU_DEP_1)
	v_add_f32_e32 v223, v217, v212
	v_add_f32_e32 v217, v176, v205
	;; [unrolled: 1-line block ×3, first 2 shown]
	s_delay_alu instid0(VALU_DEP_1)
	v_dual_add_f32 v217, v219, v223 :: v_dual_add_f32 v218, v222, v224
	ds_store_2addr_b64 v255, v[215:216], v[217:218] offset1:60
	v_dual_sub_f32 v215, v219, v223 :: v_dual_sub_f32 v216, v222, v224
	v_dual_add_f32 v217, v196, v214 :: v_dual_add_f32 v218, v195, v213
	ds_store_b64 v255, v[215:216] offset:9120
	v_add_f32_e32 v215, v201, v209
	v_sub_f32_e32 v209, v201, v209
	s_delay_alu instid0(VALU_DEP_2) | instskip(SKIP_2) | instid1(VALU_DEP_2)
	v_fmac_f32_e32 v149, -0.5, v215
	v_add_f32_e32 v215, v205, v211
	v_sub_f32_e32 v211, v205, v211
	v_dual_fmac_f32 v176, -0.5, v215 :: v_dual_add_f32 v215, v206, v212
	v_sub_f32_e32 v212, v206, v212
	v_add_f32_e32 v206, v202, v210
	s_delay_alu instid0(VALU_DEP_3) | instskip(NEXT) | instid1(VALU_DEP_3)
	v_dual_sub_f32 v210, v202, v210 :: v_dual_fmac_f32 v175, -0.5, v215
	v_fmamk_f32 v201, v212, 0xbf5db3d7, v176
	s_delay_alu instid0(VALU_DEP_3) | instskip(NEXT) | instid1(VALU_DEP_3)
	v_fma_f32 v148, -0.5, v206, v148
	v_fmamk_f32 v226, v210, 0xbf5db3d7, v149
	v_fmac_f32_e32 v176, 0x3f5db3d7, v212
	s_delay_alu instid0(VALU_DEP_4) | instskip(NEXT) | instid1(VALU_DEP_4)
	v_dual_fmamk_f32 v202, v211, 0x3f5db3d7, v175 :: v_dual_mul_f32 v215, 0x3f5db3d7, v201
	v_fmamk_f32 v225, v209, 0x3f5db3d7, v148
	v_fmac_f32_e32 v175, 0xbf5db3d7, v211
	v_fmac_f32_e32 v149, 0x3f5db3d7, v210
	s_delay_alu instid0(VALU_DEP_4) | instskip(SKIP_1) | instid1(VALU_DEP_2)
	v_mul_f32_e32 v216, 0xbf5db3d7, v202
	v_dual_fmac_f32 v215, 0.5, v202 :: v_dual_fmac_f32 v148, 0xbf5db3d7, v209
	v_dual_fmac_f32 v216, 0.5, v201 :: v_dual_add_f32 v201, v214, v208
	v_sub_f32_e32 v214, v214, v208
	s_delay_alu instid0(VALU_DEP_2) | instskip(SKIP_1) | instid1(VALU_DEP_2)
	v_dual_fmac_f32 v196, -0.5, v201 :: v_dual_add_f32 v201, v213, v207
	v_sub_f32_e32 v213, v213, v207
	v_fmac_f32_e32 v195, -0.5, v201
	s_delay_alu instid0(VALU_DEP_2) | instskip(SKIP_1) | instid1(VALU_DEP_2)
	v_fmamk_f32 v201, v213, 0xbf5db3d7, v196
	v_fmac_f32_e32 v196, 0x3f5db3d7, v213
	v_dual_fmamk_f32 v202, v214, 0x3f5db3d7, v195 :: v_dual_mul_f32 v219, 0x3f5db3d7, v201
	s_delay_alu instid0(VALU_DEP_2) | instskip(NEXT) | instid1(VALU_DEP_2)
	v_dual_fmac_f32 v195, 0xbf5db3d7, v214 :: v_dual_mul_f32 v210, -0.5, v196
	v_mul_f32_e32 v222, 0xbf5db3d7, v202
	s_delay_alu instid0(VALU_DEP_3) | instskip(NEXT) | instid1(VALU_DEP_3)
	v_dual_fmac_f32 v219, 0.5, v202 :: v_dual_add_f32 v202, v226, v216
	v_mul_f32_e32 v209, -0.5, v195
	s_delay_alu instid0(VALU_DEP_4) | instskip(NEXT) | instid1(VALU_DEP_4)
	v_fmac_f32_e32 v210, 0xbf5db3d7, v195
	v_dual_fmac_f32 v222, 0.5, v201 :: v_dual_add_f32 v201, v198, v204
	s_delay_alu instid0(VALU_DEP_3) | instskip(SKIP_1) | instid1(VALU_DEP_2)
	v_fmac_f32_e32 v209, 0x3f5db3d7, v196
	s_wait_dscnt 0x8
	v_fma_f32 v223, -0.5, v201, v144
	v_dual_add_f32 v201, v197, v203 :: v_dual_add_f32 v144, v144, v198
	v_add_f32_e32 v198, v218, v207
	v_sub_f32_e32 v207, v182, v190
	s_delay_alu instid0(VALU_DEP_4) | instskip(NEXT) | instid1(VALU_DEP_4)
	v_fmamk_f32 v231, v229, 0x3f5db3d7, v223
	v_fma_f32 v224, -0.5, v201, v145
	v_add_f32_e32 v201, v225, v215
	v_fmac_f32_e32 v223, 0xbf5db3d7, v229
	s_delay_alu instid0(VALU_DEP_3) | instskip(NEXT) | instid1(VALU_DEP_2)
	v_dual_add_f32 v205, v231, v219 :: v_dual_fmamk_f32 v232, v230, 0xbf5db3d7, v224
	v_dual_fmac_f32 v224, 0x3f5db3d7, v230 :: v_dual_add_f32 v195, v223, v209
	s_delay_alu instid0(VALU_DEP_2) | instskip(NEXT) | instid1(VALU_DEP_2)
	v_add_f32_e32 v206, v232, v222
	v_add_f32_e32 v196, v224, v210
	ds_store_2addr_b64 v156, v[201:202], v[205:206] offset0:164 offset1:224
	v_dual_mul_f32 v205, -0.5, v176 :: v_dual_mul_f32 v206, -0.5, v175
	v_dual_sub_f32 v201, v231, v219 :: v_dual_sub_f32 v202, v232, v222
	s_delay_alu instid0(VALU_DEP_2) | instskip(NEXT) | instid1(VALU_DEP_3)
	v_fmac_f32_e32 v205, 0xbf5db3d7, v175
	v_fmac_f32_e32 v206, 0x3f5db3d7, v176
	s_delay_alu instid0(VALU_DEP_1)
	v_dual_add_f32 v176, v149, v205 :: v_dual_add_f32 v175, v148, v206
	ds_store_2addr_b64 v161, v[175:176], v[195:196] offset0:12 offset1:72
	v_add_f32_e32 v176, v144, v204
	v_add_f32_e32 v144, v145, v197
	v_dual_sub_f32 v195, v225, v215 :: v_dual_sub_f32 v196, v226, v216
	v_add_nc_u32_e32 v175, 0x2c00, v255
	s_delay_alu instid0(VALU_DEP_3) | instskip(SKIP_1) | instid1(VALU_DEP_1)
	v_add_f32_e32 v197, v144, v203
	v_dual_add_f32 v203, v217, v208 :: v_dual_sub_f32 v144, v176, v198
	v_sub_f32_e32 v145, v197, v203
	ds_store_b64 v255, v[144:145] offset:9600
	v_dual_sub_f32 v145, v149, v205 :: v_dual_sub_f32 v144, v148, v206
	v_dual_sub_f32 v148, v223, v209 :: v_dual_sub_f32 v149, v224, v210
	ds_store_2addr_b64 v175, v[195:196], v[201:202] offset0:92 offset1:152
	v_sub_f32_e32 v206, v181, v189
	ds_store_2addr_b64 v160, v[144:145], v[148:149] offset0:68 offset1:128
	v_add_f32_e32 v148, v146, v179
	v_dual_add_f32 v144, v176, v198 :: v_dual_add_f32 v145, v197, v203
	v_sub_f32_e32 v198, v199, v193
	s_delay_alu instid0(VALU_DEP_3) | instskip(SKIP_1) | instid1(VALU_DEP_1)
	v_add_f32_e32 v176, v148, v187
	v_add_f32_e32 v148, v147, v180
	v_dual_add_f32 v195, v148, v188 :: v_dual_add_f32 v148, v154, v185
	s_delay_alu instid0(VALU_DEP_1) | instskip(SKIP_1) | instid1(VALU_DEP_1)
	v_add_f32_e32 v196, v148, v191
	v_add_f32_e32 v148, v168, v186
	v_add_f32_e32 v197, v148, v192
	s_delay_alu instid0(VALU_DEP_1) | instskip(SKIP_2) | instid1(VALU_DEP_1)
	v_dual_add_f32 v148, v176, v196 :: v_dual_add_f32 v149, v195, v197
	ds_store_2addr_b64 v255, v[144:145], v[148:149] offset0:120 offset1:180
	v_add_f32_e32 v144, v180, v188
	v_dual_fmac_f32 v147, -0.5, v144 :: v_dual_add_f32 v144, v185, v191
	v_sub_f32_e32 v185, v185, v191
	s_delay_alu instid0(VALU_DEP_2) | instskip(NEXT) | instid1(VALU_DEP_1)
	v_dual_sub_f32 v191, v179, v187 :: v_dual_fmac_f32 v154, -0.5, v144
	v_dual_add_f32 v144, v186, v192 :: v_dual_fmamk_f32 v203, v191, 0xbf5db3d7, v147
	s_delay_alu instid0(VALU_DEP_1) | instskip(SKIP_3) | instid1(VALU_DEP_4)
	v_dual_fmac_f32 v147, 0x3f5db3d7, v191 :: v_dual_fmac_f32 v168, -0.5, v144
	v_dual_add_f32 v144, v179, v187 :: v_dual_sub_f32 v179, v180, v188
	v_sub_f32_e32 v186, v186, v192
	v_add_f32_e32 v192, v177, v199
	v_fmamk_f32 v145, v185, 0xbf5db3d7, v168
	s_delay_alu instid0(VALU_DEP_4)
	v_fma_f32 v146, -0.5, v144, v146
	v_fmac_f32_e32 v168, 0x3f5db3d7, v185
	v_fmamk_f32 v148, v186, 0x3f5db3d7, v154
	v_fmac_f32_e32 v154, 0xbf5db3d7, v186
	v_mul_f32_e32 v180, 0x3f5db3d7, v145
	v_fmamk_f32 v202, v179, 0x3f5db3d7, v146
	s_delay_alu instid0(VALU_DEP_4) | instskip(SKIP_1) | instid1(VALU_DEP_2)
	v_dual_fmac_f32 v146, 0xbf5db3d7, v179 :: v_dual_mul_f32 v187, 0xbf5db3d7, v148
	v_mul_f32_e32 v179, -0.5, v168
	v_dual_fmac_f32 v180, 0.5, v148 :: v_dual_fmac_f32 v187, 0.5, v145
	v_dual_add_f32 v145, v200, v194 :: v_dual_add_f32 v188, v178, v200
	s_delay_alu instid0(VALU_DEP_3) | instskip(SKIP_1) | instid1(VALU_DEP_4)
	v_fmac_f32_e32 v179, 0xbf5db3d7, v154
	v_mul_f32_e32 v154, -0.5, v154
	v_add_f32_e32 v144, v202, v180
	s_delay_alu instid0(VALU_DEP_4) | instskip(SKIP_1) | instid1(VALU_DEP_4)
	v_fmac_f32_e32 v178, -0.5, v145
	v_add_f32_e32 v145, v199, v193
	v_dual_sub_f32 v199, v200, v194 :: v_dual_fmac_f32 v154, 0x3f5db3d7, v168
	s_delay_alu instid0(VALU_DEP_2) | instskip(NEXT) | instid1(VALU_DEP_4)
	v_dual_fmac_f32 v177, -0.5, v145 :: v_dual_add_nc_u32 v168, 0x2400, v255
	v_fmamk_f32 v145, v198, 0xbf5db3d7, v178
	v_fmac_f32_e32 v178, 0x3f5db3d7, v198
	s_delay_alu instid0(VALU_DEP_3) | instskip(NEXT) | instid1(VALU_DEP_3)
	v_fmamk_f32 v148, v199, 0x3f5db3d7, v177
	v_mul_f32_e32 v200, 0x3f5db3d7, v145
	v_fmac_f32_e32 v177, 0xbf5db3d7, v199
	s_delay_alu instid0(VALU_DEP_3) | instskip(NEXT) | instid1(VALU_DEP_3)
	v_mul_f32_e32 v201, 0xbf5db3d7, v148
	v_fmac_f32_e32 v200, 0.5, v148
	s_delay_alu instid0(VALU_DEP_3) | instskip(NEXT) | instid1(VALU_DEP_3)
	v_dual_add_f32 v148, v182, v190 :: v_dual_mul_f32 v185, -0.5, v177
	v_fmac_f32_e32 v201, 0.5, v145
	v_add_f32_e32 v145, v203, v187
	s_wait_dscnt 0xb
	s_delay_alu instid0(VALU_DEP_3) | instskip(SKIP_2) | instid1(VALU_DEP_3)
	v_fma_f32 v204, -0.5, v148, v150
	v_dual_add_f32 v148, v181, v189 :: v_dual_fmac_f32 v185, 0x3f5db3d7, v178
	v_mul_f32_e32 v178, -0.5, v178
	v_fmamk_f32 v208, v206, 0x3f5db3d7, v204
	s_delay_alu instid0(VALU_DEP_3) | instskip(SKIP_1) | instid1(VALU_DEP_4)
	v_fma_f32 v205, -0.5, v148, v151
	v_fmac_f32_e32 v204, 0xbf5db3d7, v206
	v_fmac_f32_e32 v178, 0xbf5db3d7, v177
	s_delay_alu instid0(VALU_DEP_3) | instskip(SKIP_2) | instid1(VALU_DEP_3)
	v_dual_add_f32 v148, v208, v200 :: v_dual_fmamk_f32 v209, v207, 0xbf5db3d7, v205
	v_fmac_f32_e32 v205, 0x3f5db3d7, v207
	v_add_f32_e32 v177, v188, v194
	v_add_f32_e32 v149, v209, v201
	ds_store_2addr_b64 v162, v[144:145], v[148:149] offset0:28 offset1:88
	v_dual_add_f32 v145, v147, v179 :: v_dual_add_f32 v144, v146, v154
	v_dual_add_f32 v148, v204, v185 :: v_dual_add_f32 v149, v205, v178
	ds_store_2addr_b64 v161, v[144:145], v[148:149] offset0:132 offset1:192
	v_add_f32_e32 v148, v150, v182
	v_sub_f32_e32 v144, v176, v196
	v_add_f32_e32 v176, v192, v193
	s_delay_alu instid0(VALU_DEP_3) | instskip(SKIP_1) | instid1(VALU_DEP_1)
	v_dual_sub_f32 v145, v195, v197 :: v_dual_add_f32 v150, v148, v190
	v_add_f32_e32 v148, v151, v181
	v_dual_add_f32 v151, v148, v189 :: v_dual_sub_f32 v148, v150, v176
	s_delay_alu instid0(VALU_DEP_1)
	v_dual_add_f32 v176, v150, v176 :: v_dual_sub_f32 v149, v151, v177
	v_add_f32_e32 v177, v151, v177
	v_add_f32_e32 v151, v167, v172
	ds_store_2addr_b64 v168, v[144:145], v[148:149] offset0:108 offset1:168
	v_dual_sub_f32 v144, v202, v180 :: v_dual_sub_f32 v145, v203, v187
	v_dual_sub_f32 v148, v208, v200 :: v_dual_sub_f32 v149, v209, v201
	v_add_f32_e32 v151, v151, v173
	ds_store_2addr_b64 v164, v[144:145], v[148:149] offset0:84 offset1:144
	v_dual_sub_f32 v145, v147, v179 :: v_dual_sub_f32 v144, v146, v154
	v_dual_sub_f32 v146, v204, v185 :: v_dual_sub_f32 v147, v205, v178
	v_add_f32_e32 v148, v174, v184
	v_sub_f32_e32 v149, v174, v184
	ds_store_2addr_b64 v160, v[144:145], v[146:147] offset0:188 offset1:248
	v_add_f32_e32 v144, v169, v170
	v_dual_add_f32 v145, v153, v169 :: v_dual_sub_f32 v146, v171, v183
	v_add_f32_e32 v147, v171, v183
	s_delay_alu instid0(VALU_DEP_3) | instskip(NEXT) | instid1(VALU_DEP_3)
	v_dual_fmac_f32 v153, -0.5, v144 :: v_dual_add_f32 v144, v152, v171
	v_add_f32_e32 v145, v145, v170
	s_delay_alu instid0(VALU_DEP_3) | instskip(NEXT) | instid1(VALU_DEP_3)
	v_fma_f32 v178, -0.5, v147, v152
	v_fmamk_f32 v171, v146, 0xbf5db3d7, v153
	v_dual_fmac_f32 v153, 0x3f5db3d7, v146 :: v_dual_add_f32 v146, v172, v173
	s_delay_alu instid0(VALU_DEP_1) | instskip(SKIP_2) | instid1(VALU_DEP_3)
	v_dual_add_f32 v144, v144, v183 :: v_dual_fmac_f32 v167, -0.5, v146
	v_dual_add_f32 v146, v155, v174 :: v_dual_fmac_f32 v155, -0.5, v148
	v_sub_f32_e32 v148, v172, v173
	v_fmamk_f32 v174, v149, 0xbf5db3d7, v167
	s_delay_alu instid0(VALU_DEP_3) | instskip(NEXT) | instid1(VALU_DEP_3)
	v_dual_fmac_f32 v167, 0x3f5db3d7, v149 :: v_dual_add_f32 v146, v146, v184
	v_fmamk_f32 v172, v148, 0x3f5db3d7, v155
	s_delay_alu instid0(VALU_DEP_2) | instskip(NEXT) | instid1(VALU_DEP_3)
	v_dual_fmac_f32 v155, 0xbf5db3d7, v148 :: v_dual_mul_f32 v148, -0.5, v167
	v_sub_f32_e32 v150, v144, v146
	v_add_f32_e32 v152, v144, v146
	s_delay_alu instid0(VALU_DEP_3) | instskip(NEXT) | instid1(VALU_DEP_4)
	v_mul_f32_e32 v146, -0.5, v155
	v_fmac_f32_e32 v148, 0xbf5db3d7, v155
	s_delay_alu instid0(VALU_DEP_1) | instskip(SKIP_3) | instid1(VALU_DEP_2)
	v_dual_fmac_f32 v146, 0x3f5db3d7, v167 :: v_dual_add_f32 v149, v153, v148
	v_sub_f32_e32 v147, v153, v148
	v_sub_f32_e32 v148, v169, v170
	v_mul_f32_e32 v153, 0x3f5db3d7, v174
	v_fmamk_f32 v169, v148, 0x3f5db3d7, v178
	s_delay_alu instid0(VALU_DEP_2) | instskip(SKIP_1) | instid1(VALU_DEP_2)
	v_fmac_f32_e32 v153, 0.5, v172
	v_fmac_f32_e32 v178, 0xbf5db3d7, v148
	v_add_f32_e32 v154, v169, v153
	v_sub_f32_e32 v144, v169, v153
	v_add_f32_e32 v153, v145, v151
	v_sub_f32_e32 v151, v145, v151
	v_dual_mul_f32 v145, 0xbf5db3d7, v172 :: v_dual_add_f32 v148, v178, v146
	v_sub_f32_e32 v146, v178, v146
	s_delay_alu instid0(VALU_DEP_2) | instskip(NEXT) | instid1(VALU_DEP_1)
	v_fmac_f32_e32 v145, 0.5, v174
	v_add_f32_e32 v155, v171, v145
	v_sub_f32_e32 v145, v171, v145
	ds_store_2addr_b64 v166, v[176:177], v[152:153] offset0:112 offset1:172
	ds_store_b64 v255, v[154:155] offset:5280
	ds_store_b64 v255, v[148:149] offset:8160
	;; [unrolled: 1-line block ×5, first 2 shown]
	global_wb scope:SCOPE_SE
	s_wait_storecnt_dscnt 0x0
	s_barrier_signal -1
	s_barrier_wait -1
	global_inv scope:SCOPE_SE
	scratch_load_b64 v[169:170], off, off   ; 8-byte Folded Reload
	scratch_store_b32 off, v233, off offset:16 ; 4-byte Folded Spill
	s_wait_loadcnt 0x0
	global_load_b64 v[173:174], v[169:170], off offset:17280
	ds_load_2addr_b64 v[169:172], v255 offset1:60
	s_wait_loadcnt_dscnt 0x0
	v_mul_f32_e32 v167, v170, v174
	v_mul_f32_e32 v177, v169, v174
	s_delay_alu instid0(VALU_DEP_2) | instskip(SKIP_1) | instid1(VALU_DEP_3)
	v_fma_f32 v176, v169, v173, -v167
	v_lshlrev_b32_e32 v167, 3, v233
	v_fmac_f32_e32 v177, v170, v173
	s_clause 0x1
	global_load_b64 v[169:170], v167, s[0:1] offset:480
	global_load_b64 v[210:211], v167, s[0:1] offset:8640
	ds_store_b64 v255, v[176:177]
	s_clause 0x4
	global_load_b64 v[235:236], v167, s[0:1] offset:16032
	global_load_b64 v[218:219], v167, s[0:1] offset:12096
	;; [unrolled: 1-line block ×5, first 2 shown]
	s_wait_loadcnt 0x6
	v_mul_f32_e32 v173, v172, v170
	v_mul_f32_e32 v179, v171, v170
	s_delay_alu instid0(VALU_DEP_2)
	v_fma_f32 v178, v171, v169, -v173
	global_load_b64 v[173:174], v167, s[0:1] offset:3456
	v_fmac_f32_e32 v179, v172, v169
	ds_load_2addr_b64 v[169:172], v156 offset0:176 offset1:236
	s_wait_loadcnt_dscnt 0x0
	v_mul_f32_e32 v176, v170, v174
	v_mul_f32_e32 v177, v169, v174
	s_delay_alu instid0(VALU_DEP_2) | instskip(NEXT) | instid1(VALU_DEP_2)
	v_fma_f32 v176, v169, v173, -v176
	v_fmac_f32_e32 v177, v170, v173
	global_load_b64 v[169:170], v167, s[0:1] offset:3936
	s_wait_loadcnt 0x0
	v_mul_f32_e32 v173, v172, v170
	v_mul_f32_e32 v181, v171, v170
	s_delay_alu instid0(VALU_DEP_2)
	v_fma_f32 v180, v171, v169, -v173
	global_load_b64 v[173:174], v167, s[0:1] offset:6912
	v_fmac_f32_e32 v181, v172, v169
	ds_load_2addr_b64 v[169:172], v161 offset0:96 offset1:156
	s_wait_loadcnt_dscnt 0x0
	v_mul_f32_e32 v182, v170, v174
	v_mul_f32_e32 v183, v169, v174
	s_delay_alu instid0(VALU_DEP_2) | instskip(NEXT) | instid1(VALU_DEP_2)
	v_fma_f32 v182, v169, v173, -v182
	v_fmac_f32_e32 v183, v170, v173
	global_load_b64 v[169:170], v167, s[0:1] offset:7392
	;; [unrolled: 15-line block ×8, first 2 shown]
	s_wait_loadcnt 0x0
	v_mul_f32_e32 v173, v172, v170
	v_mul_f32_e32 v209, v171, v170
	s_delay_alu instid0(VALU_DEP_2) | instskip(NEXT) | instid1(VALU_DEP_2)
	v_fma_f32 v208, v171, v169, -v173
	v_fmac_f32_e32 v209, v172, v169
	v_add_nc_u32_e32 v169, 0x1c00, v255
	ds_load_2addr_b64 v[170:173], v169 offset0:88 offset1:184
	s_wait_dscnt 0x0
	v_mul_f32_e32 v174, v173, v211
	v_mul_f32_e32 v213, v172, v211
	s_delay_alu instid0(VALU_DEP_2) | instskip(NEXT) | instid1(VALU_DEP_2)
	v_fma_f32 v212, v172, v210, -v174
	v_fmac_f32_e32 v213, v173, v210
	global_load_b64 v[172:173], v167, s[0:1] offset:7872
	s_wait_loadcnt 0x0
	v_mul_f32_e32 v174, v171, v173
	v_mul_f32_e32 v211, v170, v173
	s_delay_alu instid0(VALU_DEP_2) | instskip(NEXT) | instid1(VALU_DEP_2)
	v_fma_f32 v210, v170, v172, -v174
	v_fmac_f32_e32 v211, v171, v172
	ds_load_2addr_b64 v[170:173], v158 offset0:116 offset1:176
	s_wait_dscnt 0x0
	v_mul_f32_e32 v174, v171, v215
	v_mul_f32_e32 v217, v170, v215
	s_delay_alu instid0(VALU_DEP_2) | instskip(NEXT) | instid1(VALU_DEP_2)
	v_fma_f32 v216, v170, v214, -v174
	v_fmac_f32_e32 v217, v171, v214
	global_load_b64 v[170:171], v167, s[0:1] offset:9600
	s_wait_loadcnt 0x0
	v_mul_f32_e32 v174, v173, v171
	v_mul_f32_e32 v215, v172, v171
	s_delay_alu instid0(VALU_DEP_2) | instskip(NEXT) | instid1(VALU_DEP_2)
	v_fma_f32 v214, v172, v170, -v174
	v_fmac_f32_e32 v215, v173, v170
	;; [unrolled: 14-line block ×5, first 2 shown]
	ds_load_2addr_b64 v[170:173], v165 offset0:84 offset1:144
	s_wait_dscnt 0x0
	v_mul_f32_e32 v174, v171, v236
	v_mul_f32_e32 v238, v170, v236
	s_delay_alu instid0(VALU_DEP_2) | instskip(NEXT) | instid1(VALU_DEP_2)
	v_fma_f32 v237, v170, v235, -v174
	v_fmac_f32_e32 v238, v171, v235
	global_load_b64 v[170:171], v167, s[0:1] offset:16512
	ds_store_2addr_b64 v166, v[194:195], v[198:199] offset0:88 offset1:148
	ds_store_2addr_b64 v175, v[222:223], v[229:230] offset0:104 offset1:164
	;; [unrolled: 1-line block ×4, first 2 shown]
	v_add_nc_u32_e32 v163, 0x3400, v255
	s_wait_loadcnt 0x0
	v_mul_f32_e32 v174, v173, v171
	v_mul_f32_e32 v236, v172, v171
	s_delay_alu instid0(VALU_DEP_2) | instskip(NEXT) | instid1(VALU_DEP_2)
	v_fma_f32 v235, v172, v170, -v174
	v_fmac_f32_e32 v236, v173, v170
	ds_store_2addr_b64 v163, v[192:193], v[231:232] offset0:124 offset1:184
	ds_store_2addr_b64 v162, v[202:203], v[206:207] offset0:136 offset1:196
	;; [unrolled: 1-line block ×6, first 2 shown]
	ds_store_2addr_b64 v161, v[208:209], v[182:183] offset1:96
	ds_store_2addr_b64 v161, v[184:185], v[210:211] offset0:156 offset1:216
	ds_store_2addr_b64 v159, v[188:189], v[218:219] offset0:76 offset1:136
	;; [unrolled: 1-line block ×3, first 2 shown]
	ds_store_b64 v255, v[235:236] offset:16512
	s_and_saveexec_b32 s2, vcc_lo
	s_cbranch_execz .LBB0_9
; %bb.8:
	s_wait_alu 0xfffe
	v_add_co_u32 v166, s0, s0, v167
	s_wait_alu 0xf1ff
	v_add_co_ci_u32_e64 v167, null, s1, 0, s0
	s_clause 0x9
	global_load_b64 v[174:175], v[166:167], off offset:1440
	global_load_b64 v[176:177], v[166:167], off offset:3168
	;; [unrolled: 1-line block ×10, first 2 shown]
	v_add_nc_u32_e32 v163, 0x500, v255
	ds_load_2addr_b64 v[170:173], v163 offset0:20 offset1:236
	s_wait_loadcnt_dscnt 0x900
	v_mul_f32_e32 v168, v171, v175
	s_wait_loadcnt 0x8
	v_dual_mul_f32 v193, v170, v175 :: v_dual_mul_f32 v194, v173, v177
	v_mul_f32_e32 v175, v172, v177
	s_delay_alu instid0(VALU_DEP_3) | instskip(NEXT) | instid1(VALU_DEP_3)
	v_fma_f32 v192, v170, v174, -v168
	v_dual_fmac_f32 v193, v171, v174 :: v_dual_add_nc_u32 v168, 0x1200, v255
	s_delay_alu instid0(VALU_DEP_4) | instskip(NEXT) | instid1(VALU_DEP_4)
	v_fma_f32 v174, v172, v176, -v194
	v_fmac_f32_e32 v175, v173, v176
	ds_store_2addr_b64 v163, v[192:193], v[174:175] offset0:20 offset1:236
	ds_load_2addr_b64 v[170:173], v168 offset0:36 offset1:252
	s_wait_loadcnt_dscnt 0x700
	v_mul_f32_e32 v163, v171, v179
	s_wait_loadcnt 0x6
	v_dual_mul_f32 v175, v170, v179 :: v_dual_mul_f32 v176, v173, v181
	v_mul_f32_e32 v177, v172, v181
	s_delay_alu instid0(VALU_DEP_3) | instskip(NEXT) | instid1(VALU_DEP_3)
	v_fma_f32 v174, v170, v178, -v163
	v_fmac_f32_e32 v175, v171, v178
	s_delay_alu instid0(VALU_DEP_4) | instskip(NEXT) | instid1(VALU_DEP_4)
	v_fma_f32 v176, v172, v180, -v176
	v_fmac_f32_e32 v177, v173, v180
	ds_store_2addr_b64 v168, v[174:175], v[176:177] offset0:36 offset1:252
	ds_load_2addr_b64 v[170:173], v158 offset0:20 offset1:236
	s_wait_loadcnt_dscnt 0x500
	v_mul_f32_e32 v163, v171, v183
	s_wait_loadcnt 0x4
	v_dual_mul_f32 v175, v170, v183 :: v_dual_mul_f32 v168, v173, v185
	v_mul_f32_e32 v177, v172, v185
	s_delay_alu instid0(VALU_DEP_3) | instskip(NEXT) | instid1(VALU_DEP_3)
	v_fma_f32 v174, v170, v182, -v163
	v_fmac_f32_e32 v175, v171, v182
	s_delay_alu instid0(VALU_DEP_4) | instskip(NEXT) | instid1(VALU_DEP_4)
	v_fma_f32 v176, v172, v184, -v168
	v_fmac_f32_e32 v177, v173, v184
	v_add_nc_u32_e32 v163, 0x2e00, v255
	v_add_nc_u32_e32 v184, 0x3b00, v255
	ds_store_2addr_b64 v158, v[174:175], v[176:177] offset0:20 offset1:236
	ds_load_2addr_b64 v[170:173], v163 offset0:4 offset1:220
	ds_load_2addr_b64 v[174:177], v184 offset0:20 offset1:236
	s_wait_loadcnt_dscnt 0x301
	v_mul_f32_e32 v178, v171, v187
	v_mul_f32_e32 v168, v170, v187
	s_wait_loadcnt 0x2
	v_mul_f32_e32 v180, v173, v189
	s_wait_loadcnt_dscnt 0x100
	v_dual_mul_f32 v179, v172, v189 :: v_dual_mul_f32 v182, v175, v191
	v_dual_mul_f32 v181, v174, v191 :: v_dual_fmac_f32 v168, v171, v186
	s_wait_loadcnt 0x0
	v_mul_f32_e32 v185, v177, v167
	v_mul_f32_e32 v183, v176, v167
	v_fma_f32 v167, v170, v186, -v178
	v_fma_f32 v178, v172, v188, -v180
	v_fmac_f32_e32 v179, v173, v188
	v_fma_f32 v180, v174, v190, -v182
	v_fmac_f32_e32 v181, v175, v190
	;; [unrolled: 2-line block ×3, first 2 shown]
	ds_store_2addr_b64 v163, v[167:168], v[178:179] offset0:4 offset1:220
	ds_store_2addr_b64 v184, v[180:181], v[182:183] offset0:20 offset1:236
.LBB0_9:
	s_wait_alu 0xfffe
	s_or_b32 exec_lo, exec_lo, s2
	global_wb scope:SCOPE_SE
	s_wait_storecnt_dscnt 0x0
	s_barrier_signal -1
	s_barrier_wait -1
	global_inv scope:SCOPE_SE
	ds_load_2addr_b64 v[200:203], v156 offset0:176 offset1:236
	ds_load_2addr_b64 v[184:187], v162 offset0:40 offset1:136
	ds_load_2addr_b64 v[208:211], v161 offset0:96 offset1:156
	ds_load_2addr_b64 v[188:191], v169 offset0:88 offset1:184
	ds_load_2addr_b64 v[204:207], v159 offset0:16 offset1:76
	ds_load_2addr_b64 v[192:195], v159 offset0:136 offset1:232
	ds_load_2addr_b64 v[196:199], v160 offset0:56 offset1:152
	ds_load_2addr_b64 v[160:163], v156 offset0:20 offset1:80
	ds_load_2addr_b64 v[180:183], v157 offset0:68 offset1:128
	ds_load_2addr_b64 v[176:179], v158 offset0:116 offset1:176
	ds_load_2addr_b64 v[212:215], v164 offset0:192 offset1:252
	ds_load_2addr_b64 v[172:175], v164 offset0:36 offset1:96
	ds_load_2addr_b64 v[168:171], v165 offset0:84 offset1:144
	ds_load_2addr_b64 v[164:167], v255 offset1:60
	ds_load_2addr_b64 v[156:159], v255 offset0:120 offset1:216
	s_and_saveexec_b32 s0, vcc_lo
	s_cbranch_execz .LBB0_11
; %bb.10:
	v_add_nc_u32_e32 v0, 0x500, v255
	v_add_nc_u32_e32 v1, 0x1200, v255
	v_add_nc_u32_e32 v2, 0x2000, v255
	v_add_nc_u32_e32 v3, 0x2e00, v255
	v_add_nc_u32_e32 v216, 0x3b00, v255
	ds_load_2addr_b64 v[152:155], v0 offset0:20 offset1:236
	ds_load_2addr_b64 v[148:151], v1 offset0:36 offset1:252
	;; [unrolled: 1-line block ×5, first 2 shown]
.LBB0_11:
	s_wait_alu 0xfffe
	s_or_b32 exec_lo, exec_lo, s0
	s_wait_dscnt 0xc
	v_sub_f32_e32 v216, v200, v208
	s_wait_dscnt 0x4
	v_dual_sub_f32 v217, v212, v204 :: v_dual_sub_f32 v224, v190, v194
	v_sub_f32_e32 v225, v191, v195
	v_sub_f32_e32 v230, v187, v199
	global_wb scope:SCOPE_SE
	s_wait_dscnt 0x0
	v_add_f32_e32 v222, v216, v217
	v_sub_f32_e32 v216, v201, v209
	v_sub_f32_e32 v217, v213, v205
	s_barrier_signal -1
	s_barrier_wait -1
	global_inv scope:SCOPE_SE
	v_sub_f32_e32 v229, v186, v198
	v_dual_add_f32 v251, v216, v217 :: v_dual_sub_f32 v216, v186, v190
	v_dual_sub_f32 v217, v198, v194 :: v_dual_sub_f32 v236, v209, v205
	v_sub_f32_e32 v237, v201, v213
	v_add_f32_e32 v219, v209, v205
	v_sub_f32_e32 v239, v208, v204
	s_delay_alu instid0(VALU_DEP_4) | instskip(SKIP_1) | instid1(VALU_DEP_4)
	v_dual_add_f32 v252, v216, v217 :: v_dual_sub_f32 v217, v199, v195
	v_sub_f32_e32 v216, v187, v191
	v_fma_f32 v233, -0.5, v219, v165
	s_delay_alu instid0(VALU_DEP_2) | instskip(NEXT) | instid1(VALU_DEP_1)
	v_dual_add_f32 v223, v216, v217 :: v_dual_add_f32 v216, v190, v194
	v_fma_f32 v253, -0.5, v216, v158
	s_delay_alu instid0(VALU_DEP_1) | instskip(NEXT) | instid1(VALU_DEP_1)
	v_dual_add_f32 v216, v191, v195 :: v_dual_fmamk_f32 v217, v230, 0xbf737871, v253
	v_fma_f32 v254, -0.5, v216, v159
	s_delay_alu instid0(VALU_DEP_2) | instskip(NEXT) | instid1(VALU_DEP_2)
	v_fmac_f32_e32 v217, 0xbf167918, v225
	v_fmamk_f32 v216, v229, 0x3f737871, v254
	v_fmac_f32_e32 v254, 0xbf737871, v229
	v_fmac_f32_e32 v253, 0x3f737871, v230
	s_delay_alu instid0(VALU_DEP_4) | instskip(NEXT) | instid1(VALU_DEP_4)
	v_fmac_f32_e32 v217, 0x3e9e377a, v252
	v_fmac_f32_e32 v216, 0x3f167918, v224
	s_delay_alu instid0(VALU_DEP_4) | instskip(NEXT) | instid1(VALU_DEP_4)
	v_fmac_f32_e32 v254, 0xbf167918, v224
	v_fmac_f32_e32 v253, 0x3f167918, v225
	s_delay_alu instid0(VALU_DEP_4) | instskip(NEXT) | instid1(VALU_DEP_2)
	v_mul_f32_e32 v231, 0x3f167918, v217
	v_dual_fmac_f32 v216, 0x3e9e377a, v223 :: v_dual_fmac_f32 v253, 0x3e9e377a, v252
	s_delay_alu instid0(VALU_DEP_1) | instskip(NEXT) | instid1(VALU_DEP_3)
	v_mul_f32_e32 v226, 0xbf167918, v216
	v_fmac_f32_e32 v231, 0x3f4f1bbd, v216
	v_sub_f32_e32 v240, v200, v212
	v_add_f32_e32 v218, v159, v187
	s_delay_alu instid0(VALU_DEP_4) | instskip(NEXT) | instid1(VALU_DEP_2)
	v_dual_fmac_f32 v226, 0x3f4f1bbd, v217 :: v_dual_add_f32 v217, v208, v204
	v_dual_fmamk_f32 v235, v240, 0x3f737871, v233 :: v_dual_add_f32 v218, v218, v191
	s_delay_alu instid0(VALU_DEP_2) | instskip(SKIP_1) | instid1(VALU_DEP_3)
	v_fma_f32 v232, -0.5, v217, v164
	v_dual_add_f32 v217, v158, v186 :: v_dual_add_f32 v216, v164, v200
	v_add_f32_e32 v218, v218, v195
	s_delay_alu instid0(VALU_DEP_4) | instskip(NEXT) | instid1(VALU_DEP_4)
	v_fmac_f32_e32 v235, 0x3f167918, v239
	v_fmamk_f32 v234, v237, 0xbf737871, v232
	s_delay_alu instid0(VALU_DEP_4)
	v_dual_add_f32 v217, v217, v190 :: v_dual_add_f32 v216, v216, v208
	v_sub_f32_e32 v190, v190, v186
	v_add_f32_e32 v186, v186, v198
	v_sub_f32_e32 v208, v208, v200
	v_add_f32_e32 v200, v200, v212
	v_dual_add_f32 v216, v216, v204 :: v_dual_add_f32 v217, v217, v194
	s_delay_alu instid0(VALU_DEP_4) | instskip(SKIP_1) | instid1(VALU_DEP_4)
	v_fma_f32 v158, -0.5, v186, v158
	v_sub_f32_e32 v204, v204, v212
	v_fma_f32 v164, -0.5, v200, v164
	v_sub_f32_e32 v194, v194, v198
	v_add_f32_e32 v238, v216, v212
	v_fmamk_f32 v186, v225, 0x3f737871, v158
	v_add_f32_e32 v204, v208, v204
	v_fmamk_f32 v208, v236, 0x3f737871, v164
	v_fmac_f32_e32 v164, 0xbf737871, v236
	v_add_f32_e32 v190, v190, v194
	v_fmac_f32_e32 v186, 0xbf167918, v230
	v_add_f32_e32 v216, v165, v201
	v_fmac_f32_e32 v208, 0xbf167918, v237
	v_fmac_f32_e32 v164, 0x3f167918, v237
	;; [unrolled: 1-line block ×4, first 2 shown]
	v_sub_f32_e32 v200, v209, v201
	v_dual_add_f32 v201, v201, v213 :: v_dual_fmac_f32 v208, 0x3e9e377a, v204
	v_fmac_f32_e32 v164, 0x3e9e377a, v204
	v_sub_f32_e32 v204, v205, v213
	v_fmac_f32_e32 v158, 0x3f167918, v230
	s_delay_alu instid0(VALU_DEP_4) | instskip(SKIP_2) | instid1(VALU_DEP_4)
	v_fma_f32 v165, -0.5, v201, v165
	v_dual_add_f32 v242, v217, v198 :: v_dual_fmac_f32 v235, 0x3e9e377a, v251
	v_fmac_f32_e32 v232, 0x3f737871, v237
	v_fmac_f32_e32 v158, 0x3e9e377a, v190
	v_add_f32_e32 v200, v200, v204
	v_fmamk_f32 v204, v239, 0xbf737871, v165
	v_fmac_f32_e32 v165, 0x3f737871, v239
	v_add_f32_e32 v219, v235, v231
	v_fmac_f32_e32 v233, 0xbf737871, v240
	v_fmac_f32_e32 v232, 0x3f167918, v236
	;; [unrolled: 1-line block ×4, first 2 shown]
	v_dual_add_f32 v243, v218, v199 :: v_dual_add_f32 v216, v216, v209
	v_sub_f32_e32 v209, v184, v188
	v_fmac_f32_e32 v233, 0xbf167918, v239
	s_delay_alu instid0(VALU_DEP_4) | instskip(NEXT) | instid1(VALU_DEP_4)
	v_dual_fmac_f32 v165, 0x3e9e377a, v200 :: v_dual_fmac_f32 v232, 0x3e9e377a, v222
	v_add_f32_e32 v216, v216, v205
	v_dual_fmac_f32 v234, 0xbf167918, v236 :: v_dual_sub_f32 v205, v207, v215
	v_fmac_f32_e32 v254, 0x3e9e377a, v223
	s_delay_alu instid0(VALU_DEP_3) | instskip(NEXT) | instid1(VALU_DEP_3)
	v_dual_sub_f32 v190, v191, v187 :: v_dual_add_f32 v241, v216, v213
	v_dual_fmac_f32 v234, 0x3e9e377a, v222 :: v_dual_add_f32 v187, v187, v199
	v_dual_add_f32 v216, v238, v242 :: v_dual_sub_f32 v191, v195, v199
	s_delay_alu instid0(VALU_DEP_2) | instskip(NEXT) | instid1(VALU_DEP_3)
	v_dual_add_f32 v217, v241, v243 :: v_dual_add_f32 v218, v234, v226
	v_fma_f32 v159, -0.5, v187, v159
	v_dual_sub_f32 v194, v203, v211 :: v_dual_sub_f32 v225, v181, v177
	s_delay_alu instid0(VALU_DEP_4) | instskip(NEXT) | instid1(VALU_DEP_3)
	v_dual_add_f32 v190, v190, v191 :: v_dual_mul_f32 v191, 0xbf4f1bbd, v254
	v_fmamk_f32 v187, v224, 0xbf737871, v159
	v_fmac_f32_e32 v159, 0x3f737871, v224
	v_sub_f32_e32 v212, v184, v196
	s_delay_alu instid0(VALU_DEP_4) | instskip(NEXT) | instid1(VALU_DEP_4)
	v_dual_add_f32 v236, v176, v172 :: v_dual_fmac_f32 v191, 0x3f167918, v253
	v_fmac_f32_e32 v187, 0x3f167918, v229
	s_delay_alu instid0(VALU_DEP_4)
	v_dual_fmac_f32 v159, 0xbf167918, v229 :: v_dual_sub_f32 v240, v168, v172
	v_fmac_f32_e32 v233, 0x3e9e377a, v251
	scratch_load_b32 v251, off, off offset:304 th:TH_LOAD_LU ; 4-byte Folded Reload
	v_fmac_f32_e32 v187, 0x3e9e377a, v190
	v_fmac_f32_e32 v159, 0x3e9e377a, v190
	v_sub_f32_e32 v213, v185, v189
	v_sub_f32_e32 v195, v211, v203
	s_delay_alu instid0(VALU_DEP_4) | instskip(SKIP_3) | instid1(VALU_DEP_4)
	v_dual_add_f32 v223, v181, v169 :: v_dual_mul_f32 v190, 0xbf737871, v187
	v_mul_f32_e32 v187, 0x3e9e377a, v187
	v_add_f32_e32 v229, v182, v170
	v_sub_f32_e32 v239, v179, v175
	v_dual_sub_f32 v237, v177, v173 :: v_dual_fmac_f32 v190, 0x3e9e377a, v186
	s_delay_alu instid0(VALU_DEP_4) | instskip(SKIP_1) | instid1(VALU_DEP_3)
	v_fmac_f32_e32 v187, 0x3f737871, v186
	v_mul_f32_e32 v186, 0xbf737871, v159
	v_dual_mul_f32 v159, 0xbe9e377a, v159 :: v_dual_add_f32 v198, v208, v190
	s_delay_alu instid0(VALU_DEP_2) | instskip(NEXT) | instid1(VALU_DEP_2)
	v_fmac_f32_e32 v186, 0xbe9e377a, v158
	v_fmac_f32_e32 v159, 0x3f737871, v158
	;; [unrolled: 1-line block ×3, first 2 shown]
	v_mul_f32_e32 v158, 0xbf167918, v254
	s_delay_alu instid0(VALU_DEP_3) | instskip(NEXT) | instid1(VALU_DEP_2)
	v_dual_add_f32 v200, v164, v186 :: v_dual_add_f32 v201, v165, v159
	v_dual_add_f32 v199, v204, v187 :: v_dual_fmac_f32 v158, 0xbf4f1bbd, v253
	ds_store_b128 v244, v[216:219]
	v_sub_f32_e32 v217, v197, v193
	v_sub_f32_e32 v218, v181, v169
	ds_store_b128 v244, v[198:201] offset:16
	v_dual_sub_f32 v200, v238, v242 :: v_dual_sub_f32 v201, v241, v243
	v_dual_add_f32 v198, v232, v158 :: v_dual_add_f32 v199, v233, v191
	v_sub_f32_e32 v216, v188, v192
	v_sub_f32_e32 v219, v180, v176
	;; [unrolled: 1-line block ×4, first 2 shown]
	ds_store_b128 v244, v[198:201] offset:32
	v_sub_f32_e32 v198, v234, v226
	v_dual_sub_f32 v200, v208, v190 :: v_dual_sub_f32 v199, v235, v231
	v_sub_f32_e32 v201, v204, v187
	v_add_f32_e32 v190, v211, v207
	v_dual_sub_f32 v204, v215, v207 :: v_dual_sub_f32 v187, v210, v202
	v_sub_f32_e32 v235, v183, v179
	ds_store_b128 v244, v[198:201] offset:48
	v_sub_f32_e32 v199, v165, v159
	v_add_f32_e32 v159, v167, v203
	v_dual_sub_f32 v165, v211, v207 :: v_dual_sub_f32 v198, v164, v186
	v_dual_sub_f32 v201, v233, v191 :: v_dual_sub_f32 v186, v202, v210
	s_delay_alu instid0(VALU_DEP_3)
	v_add_f32_e32 v159, v159, v211
	v_sub_f32_e32 v191, v210, v206
	v_add_f32_e32 v233, v183, v171
	v_sub_f32_e32 v231, v182, v178
	v_fma_f32 v190, -0.5, v190, v167
	v_dual_add_f32 v159, v159, v207 :: v_dual_add_f32 v194, v194, v204
	v_dual_sub_f32 v211, v188, v184 :: v_dual_sub_f32 v208, v185, v197
	v_add_f32_e32 v234, v163, v183
	s_delay_alu instid0(VALU_DEP_3) | instskip(SKIP_1) | instid1(VALU_DEP_1)
	v_add_f32_e32 v207, v159, v215
	v_add_f32_e32 v159, v157, v185
	v_dual_add_f32 v159, v159, v189 :: v_dual_sub_f32 v200, v232, v158
	s_delay_alu instid0(VALU_DEP_1)
	v_dual_add_f32 v158, v166, v202 :: v_dual_add_f32 v159, v159, v193
	ds_store_b128 v244, v[198:201] offset:64
	v_add_f32_e32 v158, v158, v210
	v_add_f32_e32 v164, v210, v206
	v_dual_sub_f32 v198, v203, v215 :: v_dual_add_f32 v199, v202, v214
	v_sub_f32_e32 v200, v202, v214
	s_delay_alu instid0(VALU_DEP_4) | instskip(SKIP_2) | instid1(VALU_DEP_3)
	v_dual_add_f32 v158, v158, v206 :: v_dual_add_f32 v201, v203, v215
	v_sub_f32_e32 v202, v214, v206
	v_dual_sub_f32 v203, v206, v214 :: v_dual_add_f32 v224, v161, v181
	v_add_f32_e32 v206, v158, v214
	v_add_f32_e32 v158, v156, v184
	v_dual_add_f32 v210, v184, v196 :: v_dual_sub_f32 v181, v177, v181
	s_delay_alu instid0(VALU_DEP_4) | instskip(NEXT) | instid1(VALU_DEP_3)
	v_add_f32_e32 v224, v224, v177
	v_dual_add_f32 v177, v177, v173 :: v_dual_add_f32 v158, v158, v188
	v_add_f32_e32 v214, v188, v192
	v_sub_f32_e32 v188, v196, v192
	s_delay_alu instid0(VALU_DEP_4) | instskip(NEXT) | instid1(VALU_DEP_4)
	v_add_f32_e32 v224, v224, v173
	v_fma_f32 v177, -0.5, v177, v161
	v_add_f32_e32 v158, v158, v192
	v_dual_add_f32 v204, v225, v241 :: v_dual_fmamk_f32 v241, v200, 0x3f737871, v190
	v_dual_sub_f32 v192, v192, v196 :: v_dual_fmac_f32 v167, -0.5, v201
	v_add_f32_e32 v184, v185, v197
	v_sub_f32_e32 v185, v189, v185
	s_delay_alu instid0(VALU_DEP_4) | instskip(SKIP_3) | instid1(VALU_DEP_3)
	v_dual_fmac_f32 v241, 0x3f167918, v191 :: v_dual_add_f32 v196, v158, v196
	v_dual_add_f32 v158, v160, v180 :: v_dual_sub_f32 v215, v189, v193
	v_add_f32_e32 v189, v189, v193
	v_sub_f32_e32 v193, v193, v197
	v_dual_add_f32 v197, v159, v197 :: v_dual_add_f32 v158, v158, v176
	v_add_f32_e32 v159, v180, v168
	v_sub_f32_e32 v222, v176, v180
	v_sub_f32_e32 v180, v180, v168
	v_add_f32_e32 v224, v224, v169
	v_add_f32_e32 v226, v162, v182
	;; [unrolled: 1-line block ×3, first 2 shown]
	v_sub_f32_e32 v176, v176, v172
	v_dual_add_f32 v238, v178, v174 :: v_dual_sub_f32 v173, v173, v169
	v_dual_fmac_f32 v241, 0x3e9e377a, v194 :: v_dual_sub_f32 v230, v183, v171
	v_dual_sub_f32 v183, v179, v183 :: v_dual_add_f32 v186, v186, v202
	v_add_f32_e32 v169, v207, v224
	v_fma_f32 v159, -0.5, v159, v160
	v_sub_f32_e32 v232, v178, v182
	v_fma_f32 v161, -0.5, v223, v161
	v_add_f32_e32 v226, v226, v178
	v_sub_f32_e32 v178, v178, v174
	v_add_f32_e32 v244, v158, v168
	v_add_f32_e32 v202, v219, v240
	v_fma_f32 v219, -0.5, v236, v160
	v_fmamk_f32 v158, v180, 0x3f737871, v177
	v_sub_f32_e32 v172, v172, v168
	v_fma_f32 v164, -0.5, v164, v166
	v_fmamk_f32 v160, v237, 0x3f737871, v159
	v_fmamk_f32 v168, v218, 0xbf737871, v219
	v_fmac_f32_e32 v158, 0x3f167918, v176
	s_delay_alu instid0(VALU_DEP_4) | instskip(SKIP_1) | instid1(VALU_DEP_4)
	v_dual_fmac_f32 v159, 0xbf737871, v237 :: v_dual_fmamk_f32 v240, v198, 0xbf737871, v164
	v_add_f32_e32 v226, v226, v174
	v_fmac_f32_e32 v168, 0xbf167918, v237
	s_delay_alu instid0(VALU_DEP_4)
	v_fmac_f32_e32 v158, 0x3e9e377a, v204
	v_sub_f32_e32 v182, v182, v170
	v_fma_f32 v166, -0.5, v199, v166
	v_add_f32_e32 v226, v226, v170
	v_fmac_f32_e32 v168, 0x3e9e377a, v202
	v_mul_f32_e32 v225, 0xbf167918, v158
	s_delay_alu instid0(VALU_DEP_2) | instskip(NEXT) | instid1(VALU_DEP_2)
	v_mul_f32_e32 v236, 0x3f167918, v168
	v_fmac_f32_e32 v225, 0x3f4f1bbd, v168
	v_dual_fmac_f32 v159, 0x3f167918, v218 :: v_dual_add_f32 v234, v234, v179
	v_dual_add_f32 v179, v179, v175 :: v_dual_fmac_f32 v240, 0xbf167918, v165
	s_delay_alu instid0(VALU_DEP_4) | instskip(SKIP_1) | instid1(VALU_DEP_4)
	v_fmac_f32_e32 v236, 0x3f4f1bbd, v158
	v_dual_add_f32 v168, v206, v244 :: v_dual_fmac_f32 v219, 0x3f737871, v218
	v_add_f32_e32 v234, v234, v175
	s_delay_alu instid0(VALU_DEP_4) | instskip(SKIP_2) | instid1(VALU_DEP_4)
	v_dual_sub_f32 v175, v175, v171 :: v_dual_fmac_f32 v240, 0x3e9e377a, v186
	v_sub_f32_e32 v242, v170, v174
	v_add_f32_e32 v158, v187, v203
	v_dual_add_f32 v234, v234, v171 :: v_dual_add_f32 v171, v241, v236
	v_fma_f32 v187, -0.5, v179, v163
	v_dual_add_f32 v179, v183, v175 :: v_dual_sub_f32 v174, v174, v170
	v_add_f32_e32 v170, v240, v225
	v_fma_f32 v175, -0.5, v229, v162
	v_dual_fmac_f32 v160, 0xbf167918, v218 :: v_dual_fmac_f32 v163, -0.5, v233
	v_fmac_f32_e32 v164, 0x3f737871, v198
	v_fmac_f32_e32 v219, 0x3f167918, v237
	s_wait_loadcnt 0x0
	ds_store_b128 v251, v[168:171]
	v_fmamk_f32 v168, v165, 0x3f737871, v166
	v_fmac_f32_e32 v166, 0xbf737871, v165
	v_fmamk_f32 v170, v191, 0xbf737871, v167
	v_fmac_f32_e32 v167, 0x3f737871, v191
	;; [unrolled: 2-line block ×3, first 2 shown]
	v_fmac_f32_e32 v190, 0xbf737871, v200
	v_fmac_f32_e32 v168, 0xbf167918, v198
	;; [unrolled: 1-line block ×5, first 2 shown]
	s_delay_alu instid0(VALU_DEP_4) | instskip(NEXT) | instid1(VALU_DEP_4)
	v_fmac_f32_e32 v168, 0x3e9e377a, v158
	v_fmac_f32_e32 v166, 0x3e9e377a, v158
	v_add_f32_e32 v158, v195, v205
	s_delay_alu instid0(VALU_DEP_1)
	v_fmac_f32_e32 v167, 0x3e9e377a, v158
	v_fmac_f32_e32 v169, 0x3f167918, v180
	;; [unrolled: 1-line block ×4, first 2 shown]
	v_add_f32_e32 v180, v209, v188
	v_fmac_f32_e32 v170, 0x3e9e377a, v158
	v_add_f32_e32 v158, v222, v172
	v_fma_f32 v195, -0.5, v238, v162
	s_delay_alu instid0(VALU_DEP_2) | instskip(SKIP_1) | instid1(VALU_DEP_1)
	v_fmac_f32_e32 v160, 0x3e9e377a, v158
	v_dual_fmac_f32 v159, 0x3e9e377a, v158 :: v_dual_add_f32 v158, v181, v173
	v_fmac_f32_e32 v169, 0x3e9e377a, v158
	v_fmac_f32_e32 v161, 0x3e9e377a, v158
	;; [unrolled: 1-line block ×3, first 2 shown]
	s_delay_alu instid0(VALU_DEP_3) | instskip(NEXT) | instid1(VALU_DEP_3)
	v_mul_f32_e32 v171, 0xbf737871, v169
	v_mul_f32_e32 v173, 0xbe9e377a, v161
	s_delay_alu instid0(VALU_DEP_3) | instskip(SKIP_1) | instid1(VALU_DEP_4)
	v_dual_fmac_f32 v177, 0x3e9e377a, v204 :: v_dual_mul_f32 v172, 0x3e9e377a, v169
	v_mul_f32_e32 v169, 0xbf737871, v161
	v_fmac_f32_e32 v171, 0x3e9e377a, v160
	v_fmamk_f32 v181, v178, 0xbf737871, v163
	v_fmac_f32_e32 v163, 0x3f737871, v178
	v_fmac_f32_e32 v173, 0x3f737871, v159
	;; [unrolled: 1-line block ×5, first 2 shown]
	v_dual_fmac_f32 v163, 0xbf167918, v182 :: v_dual_fmac_f32 v190, 0xbf167918, v191
	v_mul_f32_e32 v165, 0xbf4f1bbd, v177
	v_add_f32_e32 v161, v167, v173
	v_fmac_f32_e32 v169, 0xbe9e377a, v159
	s_delay_alu instid0(VALU_DEP_4) | instskip(NEXT) | instid1(VALU_DEP_4)
	v_dual_fmac_f32 v163, 0x3e9e377a, v179 :: v_dual_add_f32 v176, v232, v174
	v_fmac_f32_e32 v165, 0x3f167918, v219
	v_fmac_f32_e32 v181, 0x3e9e377a, v179
	v_fma_f32 v174, -0.5, v210, v156
	s_delay_alu instid0(VALU_DEP_4) | instskip(SKIP_3) | instid1(VALU_DEP_2)
	v_mul_f32_e32 v183, 0xbf737871, v163
	v_mul_f32_e32 v199, 0xbe9e377a, v163
	v_dual_sub_f32 v163, v167, v173 :: v_dual_fmac_f32 v190, 0x3e9e377a, v194
	v_fma_f32 v156, -0.5, v214, v156
	v_add_f32_e32 v167, v190, v165
	v_dual_sub_f32 v165, v190, v165 :: v_dual_fmamk_f32 v190, v239, 0x3f737871, v175
	v_fmac_f32_e32 v175, 0xbf737871, v239
	s_delay_alu instid0(VALU_DEP_1) | instskip(NEXT) | instid1(VALU_DEP_1)
	v_fmac_f32_e32 v175, 0x3f167918, v230
	v_fmac_f32_e32 v175, 0x3e9e377a, v176
	;; [unrolled: 1-line block ×3, first 2 shown]
	v_add_f32_e32 v158, v168, v171
	s_delay_alu instid0(VALU_DEP_3) | instskip(NEXT) | instid1(VALU_DEP_3)
	v_dual_add_f32 v160, v166, v169 :: v_dual_fmac_f32 v199, 0x3f737871, v175
	v_add_f32_e32 v159, v170, v172
	v_fmac_f32_e32 v183, 0xbe9e377a, v175
	ds_store_b128 v251, v[158:161] offset:16
	v_mul_f32_e32 v159, 0xbf167918, v177
	v_fma_f32 v177, -0.5, v189, v157
	v_dual_fmac_f32 v157, -0.5, v184 :: v_dual_sub_f32 v160, v168, v171
	v_add_f32_e32 v171, v185, v193
	v_fmamk_f32 v185, v230, 0xbf737871, v195
	v_sub_f32_e32 v161, v170, v172
	s_delay_alu instid0(VALU_DEP_4) | instskip(SKIP_1) | instid1(VALU_DEP_4)
	v_fmamk_f32 v191, v216, 0xbf737871, v157
	v_fmac_f32_e32 v157, 0x3f737871, v216
	v_dual_add_f32 v170, v211, v192 :: v_dual_fmac_f32 v185, 0xbf167918, v239
	s_delay_alu instid0(VALU_DEP_3) | instskip(NEXT) | instid1(VALU_DEP_3)
	v_dual_sub_f32 v188, v196, v226 :: v_dual_fmac_f32 v191, 0x3f167918, v212
	v_fmac_f32_e32 v157, 0xbf167918, v212
	v_dual_sub_f32 v168, v206, v244 :: v_dual_fmac_f32 v195, 0x3f737871, v230
	v_fmac_f32_e32 v159, 0xbf4f1bbd, v219
	s_delay_alu instid0(VALU_DEP_4) | instskip(NEXT) | instid1(VALU_DEP_4)
	v_fmac_f32_e32 v191, 0x3e9e377a, v171
	v_dual_fmac_f32 v157, 0x3e9e377a, v171 :: v_dual_sub_f32 v162, v166, v169
	v_fmamk_f32 v192, v182, 0x3f737871, v187
	v_fmac_f32_e32 v187, 0xbf737871, v182
	v_fmac_f32_e32 v195, 0x3f167918, v239
	s_delay_alu instid0(VALU_DEP_4) | instskip(SKIP_4) | instid1(VALU_DEP_3)
	v_add_f32_e32 v173, v157, v199
	v_sub_f32_e32 v175, v157, v199
	v_fmamk_f32 v157, v215, 0x3f737871, v174
	v_fmac_f32_e32 v174, 0xbf737871, v215
	v_dual_sub_f32 v158, v240, v225 :: v_dual_sub_f32 v169, v207, v224
	v_dual_add_f32 v182, v196, v226 :: v_dual_fmac_f32 v157, 0xbf167918, v208
	s_delay_alu instid0(VALU_DEP_3) | instskip(SKIP_2) | instid1(VALU_DEP_4)
	v_fmac_f32_e32 v174, 0x3f167918, v208
	v_fmac_f32_e32 v187, 0xbf167918, v178
	;; [unrolled: 1-line block ×4, first 2 shown]
	s_delay_alu instid0(VALU_DEP_4) | instskip(NEXT) | instid1(VALU_DEP_1)
	v_fmac_f32_e32 v174, 0x3e9e377a, v170
	v_add_f32_e32 v172, v174, v183
	v_dual_sub_f32 v174, v174, v183 :: v_dual_fmamk_f32 v183, v208, 0xbf737871, v156
	v_fmac_f32_e32 v156, 0x3f737871, v208
	s_delay_alu instid0(VALU_DEP_2) | instskip(NEXT) | instid1(VALU_DEP_2)
	v_fmac_f32_e32 v183, 0xbf167918, v215
	v_fmac_f32_e32 v156, 0x3f167918, v215
	s_delay_alu instid0(VALU_DEP_2) | instskip(NEXT) | instid1(VALU_DEP_2)
	v_fmac_f32_e32 v183, 0x3e9e377a, v180
	v_fmac_f32_e32 v156, 0x3e9e377a, v180
	v_add_f32_e32 v180, v235, v243
	s_delay_alu instid0(VALU_DEP_1) | instskip(SKIP_1) | instid1(VALU_DEP_2)
	v_dual_fmac_f32 v164, 0x3e9e377a, v186 :: v_dual_fmac_f32 v187, 0x3e9e377a, v180
	v_fmac_f32_e32 v192, 0x3e9e377a, v180
	v_dual_mul_f32 v189, 0xbf167918, v187 :: v_dual_add_f32 v170, v231, v242
	s_delay_alu instid0(VALU_DEP_3) | instskip(NEXT) | instid1(VALU_DEP_3)
	v_add_f32_e32 v166, v164, v159
	v_dual_sub_f32 v164, v164, v159 :: v_dual_mul_f32 v179, 0xbf167918, v192
	v_sub_f32_e32 v159, v241, v236
	s_delay_alu instid0(VALU_DEP_4) | instskip(NEXT) | instid1(VALU_DEP_1)
	v_fmac_f32_e32 v195, 0x3e9e377a, v170
	v_fmac_f32_e32 v189, 0xbf4f1bbd, v195
	;; [unrolled: 1-line block ×3, first 2 shown]
	ds_store_b128 v251, v[166:169] offset:32
	ds_store_b128 v251, v[158:161] offset:48
	;; [unrolled: 1-line block ×3, first 2 shown]
	v_add_f32_e32 v186, v156, v189
	v_fmac_f32_e32 v179, 0x3f4f1bbd, v185
	s_delay_alu instid0(VALU_DEP_1) | instskip(SKIP_4) | instid1(VALU_DEP_3)
	v_sub_f32_e32 v178, v183, v179
	v_dual_add_f32 v184, v183, v179 :: v_dual_add_f32 v183, v197, v234
	v_fmac_f32_e32 v190, 0xbf167918, v230
	v_fmamk_f32 v179, v212, 0x3f737871, v177
	v_fmac_f32_e32 v177, 0xbf737871, v212
	v_fmac_f32_e32 v190, 0x3e9e377a, v176
	v_mul_f32_e32 v176, 0xbf737871, v181
	s_delay_alu instid0(VALU_DEP_3) | instskip(SKIP_1) | instid1(VALU_DEP_3)
	v_fmac_f32_e32 v177, 0xbf167918, v216
	v_fmac_f32_e32 v179, 0x3f167918, v216
	v_fmac_f32_e32 v176, 0x3e9e377a, v190
	s_delay_alu instid0(VALU_DEP_1)
	v_add_f32_e32 v170, v157, v176
	v_sub_f32_e32 v180, v157, v176
	v_sub_f32_e32 v176, v156, v189
	v_add_f32_e32 v156, v213, v217
	v_mul_f32_e32 v157, 0x3f167918, v185
	v_sub_f32_e32 v189, v197, v234
	s_delay_alu instid0(VALU_DEP_3) | instskip(SKIP_3) | instid1(VALU_DEP_1)
	v_fmac_f32_e32 v179, 0x3e9e377a, v156
	v_fmac_f32_e32 v177, 0x3e9e377a, v156
	v_mul_f32_e32 v156, 0xbf4f1bbd, v187
	v_fmac_f32_e32 v157, 0x3f4f1bbd, v192
	v_dual_fmac_f32 v156, 0x3f167918, v195 :: v_dual_add_f32 v185, v179, v157
	v_sub_f32_e32 v179, v179, v157
	v_mul_f32_e32 v157, 0x3e9e377a, v181
	s_delay_alu instid0(VALU_DEP_3) | instskip(SKIP_3) | instid1(VALU_DEP_1)
	v_add_f32_e32 v187, v177, v156
	v_sub_f32_e32 v177, v177, v156
	scratch_load_b32 v156, off, off offset:308 th:TH_LOAD_LU ; 4-byte Folded Reload
	v_fmac_f32_e32 v157, 0x3f737871, v190
	v_add_f32_e32 v171, v191, v157
	v_sub_f32_e32 v181, v191, v157
	s_wait_loadcnt 0x0
	ds_store_b128 v156, v[182:185]
	ds_store_b128 v156, v[170:173] offset:16
	ds_store_b128 v156, v[186:189] offset:32
	;; [unrolled: 1-line block ×4, first 2 shown]
	s_and_saveexec_b32 s0, vcc_lo
	s_cbranch_execz .LBB0_13
; %bb.12:
	v_dual_add_f32 v156, v145, v5 :: v_dual_add_f32 v159, v146, v6
	v_dual_sub_f32 v165, v151, v3 :: v_dual_add_f32 v166, v150, v2
	v_dual_sub_f32 v157, v149, v145 :: v_dual_add_f32 v158, v147, v7
	v_dual_add_f32 v164, v151, v3 :: v_dual_add_f32 v167, v144, v4
	s_delay_alu instid0(VALU_DEP_4) | instskip(NEXT) | instid1(VALU_DEP_4)
	v_fma_f32 v159, -0.5, v159, v154
	v_fma_f32 v166, -0.5, v166, v154
	v_dual_add_f32 v154, v154, v150 :: v_dual_sub_f32 v169, v151, v147
	s_delay_alu instid0(VALU_DEP_3)
	v_dual_sub_f32 v172, v3, v7 :: v_dual_fmamk_f32 v173, v165, 0x3f737871, v159
	v_dual_sub_f32 v160, v148, v0 :: v_dual_sub_f32 v161, v150, v146
	v_fma_f32 v158, -0.5, v158, v155
	v_dual_sub_f32 v162, v150, v2 :: v_dual_add_f32 v163, v149, v1
	v_fma_f32 v164, -0.5, v164, v155
	v_dual_add_f32 v168, v148, v0 :: v_dual_add_f32 v155, v155, v151
	v_dual_add_f32 v169, v169, v172 :: v_dual_sub_f32 v172, v2, v6
	v_fma_f32 v156, -0.5, v156, v153
	v_fma_f32 v163, -0.5, v163, v153
	v_add_f32_e32 v153, v153, v149
	v_fma_f32 v167, -0.5, v167, v152
	v_fma_f32 v168, -0.5, v168, v152
	v_add_f32_e32 v152, v152, v148
	v_dual_sub_f32 v170, v145, v149 :: v_dual_sub_f32 v151, v147, v151
	v_dual_sub_f32 v150, v146, v150 :: v_dual_sub_f32 v149, v149, v1
	v_dual_sub_f32 v171, v148, v144 :: v_dual_add_f32 v154, v154, v146
	s_delay_alu instid0(VALU_DEP_4)
	v_dual_add_f32 v155, v155, v147 :: v_dual_add_f32 v152, v152, v144
	v_dual_sub_f32 v146, v146, v6 :: v_dual_sub_f32 v147, v147, v7
	v_add_f32_e32 v161, v161, v172
	v_sub_f32_e32 v172, v1, v5
	v_dual_sub_f32 v148, v144, v148 :: v_dual_add_f32 v153, v153, v145
	v_dual_sub_f32 v144, v144, v4 :: v_dual_sub_f32 v145, v145, v5
	s_delay_alu instid0(VALU_DEP_3) | instskip(SKIP_3) | instid1(VALU_DEP_3)
	v_add_f32_e32 v157, v157, v172
	v_sub_f32_e32 v172, v5, v1
	v_fmac_f32_e32 v159, 0xbf737871, v165
	v_fmac_f32_e32 v173, 0x3f167918, v147
	v_dual_add_f32 v5, v153, v5 :: v_dual_add_f32 v170, v170, v172
	v_sub_f32_e32 v172, v7, v3
	s_delay_alu instid0(VALU_DEP_4) | instskip(NEXT) | instid1(VALU_DEP_4)
	v_fmac_f32_e32 v159, 0xbf167918, v147
	v_fmac_f32_e32 v173, 0x3e9e377a, v161
	v_add_f32_e32 v7, v155, v7
	v_add_f32_e32 v1, v5, v1
	v_dual_add_f32 v151, v151, v172 :: v_dual_sub_f32 v172, v6, v2
	v_fmac_f32_e32 v159, 0x3e9e377a, v161
	s_delay_alu instid0(VALU_DEP_2) | instskip(SKIP_4) | instid1(VALU_DEP_4)
	v_dual_add_f32 v3, v7, v3 :: v_dual_add_f32 v150, v150, v172
	v_fmamk_f32 v172, v147, 0xbf737871, v166
	v_fmac_f32_e32 v166, 0x3f737871, v147
	v_fmamk_f32 v147, v162, 0xbf737871, v158
	v_fmac_f32_e32 v158, 0x3f737871, v162
	v_fmac_f32_e32 v172, 0x3f167918, v165
	s_delay_alu instid0(VALU_DEP_4) | instskip(SKIP_3) | instid1(VALU_DEP_3)
	v_fmac_f32_e32 v166, 0xbf167918, v165
	v_fmamk_f32 v165, v146, 0x3f737871, v164
	v_fmac_f32_e32 v164, 0xbf737871, v146
	v_fmac_f32_e32 v158, 0x3f167918, v146
	;; [unrolled: 1-line block ×3, first 2 shown]
	s_delay_alu instid0(VALU_DEP_3) | instskip(SKIP_2) | instid1(VALU_DEP_4)
	v_fmac_f32_e32 v164, 0x3f167918, v162
	v_fmamk_f32 v162, v144, 0x3f737871, v163
	v_fmac_f32_e32 v163, 0xbf737871, v144
	v_dual_fmac_f32 v165, 0x3e9e377a, v151 :: v_dual_fmac_f32 v166, 0x3e9e377a, v150
	s_delay_alu instid0(VALU_DEP_2) | instskip(SKIP_2) | instid1(VALU_DEP_4)
	v_fmac_f32_e32 v163, 0x3f167918, v160
	v_dual_fmac_f32 v164, 0x3e9e377a, v151 :: v_dual_add_f32 v151, v154, v6
	v_fmac_f32_e32 v162, 0xbf167918, v160
	v_mul_f32_e32 v161, 0xbe9e377a, v165
	s_delay_alu instid0(VALU_DEP_4) | instskip(SKIP_1) | instid1(VALU_DEP_4)
	v_fmac_f32_e32 v163, 0x3e9e377a, v170
	v_mul_f32_e32 v7, 0xbf737871, v165
	v_fmac_f32_e32 v162, 0x3e9e377a, v170
	v_fmamk_f32 v170, v160, 0xbf737871, v156
	v_fmac_f32_e32 v156, 0x3f737871, v160
	s_delay_alu instid0(VALU_DEP_2) | instskip(NEXT) | instid1(VALU_DEP_2)
	v_fmac_f32_e32 v170, 0xbf167918, v144
	v_fmac_f32_e32 v156, 0x3f167918, v144
	v_dual_sub_f32 v144, v0, v4 :: v_dual_fmac_f32 v147, 0xbf167918, v146
	v_fmac_f32_e32 v172, 0x3e9e377a, v150
	v_add_f32_e32 v150, v152, v4
	v_mul_f32_e32 v152, 0x3e9e377a, v164
	s_delay_alu instid0(VALU_DEP_4) | instskip(NEXT) | instid1(VALU_DEP_4)
	v_dual_sub_f32 v146, v4, v0 :: v_dual_fmac_f32 v147, 0x3e9e377a, v169
	v_fmac_f32_e32 v161, 0x3f737871, v172
	v_add_f32_e32 v144, v171, v144
	v_fmac_f32_e32 v158, 0x3e9e377a, v169
	v_fmamk_f32 v169, v149, 0x3f737871, v167
	v_mul_f32_e32 v171, 0xbf167918, v147
	v_mul_f32_e32 v160, 0xbf4f1bbd, v147
	v_fmac_f32_e32 v152, 0x3f737871, v166
	v_fmac_f32_e32 v170, 0x3e9e377a, v157
	;; [unrolled: 1-line block ×5, first 2 shown]
	v_fmamk_f32 v173, v145, 0xbf737871, v168
	v_dual_fmac_f32 v168, 0x3f737871, v145 :: v_dual_add_f32 v153, v163, v152
	v_mul_f32_e32 v164, 0xbf737871, v164
	v_dual_sub_f32 v147, v163, v152 :: v_dual_mul_f32 v154, 0x3f167918, v159
	v_dual_fmac_f32 v167, 0xbf737871, v149 :: v_dual_add_f32 v146, v148, v146
	v_fmac_f32_e32 v7, 0xbe9e377a, v172
	v_fmac_f32_e32 v173, 0x3f167918, v149
	v_dual_fmac_f32 v156, 0x3e9e377a, v157 :: v_dual_fmac_f32 v169, 0x3e9e377a, v144
	v_dual_fmac_f32 v168, 0xbf167918, v149 :: v_dual_mul_f32 v165, 0xbf167918, v158
	s_delay_alu instid0(VALU_DEP_3) | instskip(SKIP_2) | instid1(VALU_DEP_4)
	v_dual_add_f32 v0, v150, v0 :: v_dual_fmac_f32 v173, 0x3e9e377a, v146
	v_dual_add_f32 v2, v151, v2 :: v_dual_add_f32 v155, v162, v161
	v_dual_add_f32 v149, v170, v160 :: v_dual_fmac_f32 v154, 0x3f4f1bbd, v158
	v_dual_fmac_f32 v165, 0x3f4f1bbd, v159 :: v_dual_sub_f32 v6, v170, v160
	v_fmac_f32_e32 v167, 0xbf167918, v145
	v_sub_f32_e32 v151, v1, v3
	s_delay_alu instid0(VALU_DEP_4)
	v_sub_f32_e32 v145, v156, v154
	v_sub_f32_e32 v150, v0, v2
	v_dual_add_f32 v159, v156, v154 :: v_dual_add_f32 v154, v173, v7
	v_add_f32_e32 v156, v0, v2
	scratch_load_b32 v0, off, off offset:412 th:TH_LOAD_LU ; 4-byte Folded Reload
	v_dual_fmac_f32 v164, 0x3e9e377a, v166 :: v_dual_fmac_f32 v167, 0x3e9e377a, v144
	v_dual_fmac_f32 v168, 0x3e9e377a, v146 :: v_dual_add_f32 v157, v1, v3
	v_add_f32_e32 v148, v169, v171
	v_dual_sub_f32 v4, v162, v161 :: v_dual_sub_f32 v5, v169, v171
	s_delay_alu instid0(VALU_DEP_4) | instskip(NEXT) | instid1(VALU_DEP_4)
	v_add_f32_e32 v158, v167, v165
	v_add_f32_e32 v152, v168, v164
	v_dual_sub_f32 v146, v168, v164 :: v_dual_sub_f32 v3, v173, v7
	v_sub_f32_e32 v144, v167, v165
	s_wait_loadcnt 0x0
	v_lshlrev_b32_e32 v0, 3, v0
	ds_store_b128 v0, v[156:159]
	ds_store_b128 v0, v[152:155] offset:16
	ds_store_b128 v0, v[148:151] offset:32
	;; [unrolled: 1-line block ×4, first 2 shown]
.LBB0_13:
	s_wait_alu 0xfffe
	s_or_b32 exec_lo, exec_lo, s0
	v_add_nc_u32_e32 v144, 0x800, v255
	global_wb scope:SCOPE_SE
	s_wait_dscnt 0x0
	s_barrier_signal -1
	s_barrier_wait -1
	global_inv scope:SCOPE_SE
	ds_load_2addr_b64 v[0:3], v144 offset0:104 offset1:164
	s_mul_i32 s10, s5, 0xd80
	s_mov_b32 s2, 0xc901e574
	s_mov_b32 s3, 0x3f3e573a
	v_add_nc_u32_e32 v145, 0x1400, v255
	ds_load_2addr_b64 v[4:7], v145 offset0:80 offset1:140
	s_wait_dscnt 0x1
	v_mul_f32_e32 v159, v13, v1
	v_mul_f32_e32 v157, v9, v3
	s_delay_alu instid0(VALU_DEP_2) | instskip(NEXT) | instid1(VALU_DEP_2)
	v_fmac_f32_e32 v159, v12, v0
	v_dual_mul_f32 v0, v13, v0 :: v_dual_fmac_f32 v157, v8, v2
	v_add_nc_u32_e32 v13, 0x3800, v255
	s_wait_dscnt 0x0
	v_mul_f32_e32 v161, v11, v7
	v_mul_f32_e32 v167, v15, v5
	v_fma_f32 v160, v12, v1, -v0
	v_mul_f32_e32 v0, v15, v4
	s_delay_alu instid0(VALU_DEP_4) | instskip(SKIP_1) | instid1(VALU_DEP_3)
	v_dual_fmac_f32 v161, v10, v6 :: v_dual_add_nc_u32 v12, 0x3000, v255
	v_add_nc_u32_e32 v15, 0x1000, v255
	v_fma_f32 v168, v14, v5, -v0
	v_mul_f32_e32 v0, v9, v2
	s_delay_alu instid0(VALU_DEP_1) | instskip(SKIP_1) | instid1(VALU_DEP_1)
	v_fma_f32 v158, v8, v3, -v0
	v_dual_mul_f32 v0, v11, v6 :: v_dual_add_nc_u32 v11, 0x2800, v255
	v_fma_f32 v162, v10, v7, -v0
	v_add_nc_u32_e32 v10, 0x2000, v255
	ds_load_2addr_b64 v[0:3], v10 offset0:56 offset1:116
	v_fmac_f32_e32 v167, v14, v4
	ds_load_2addr_b64 v[4:7], v11 offset0:160 offset1:220
	s_wait_dscnt 0x1
	v_dual_mul_f32 v169, v21, v1 :: v_dual_add_nc_u32 v14, 0x3c00, v255
	v_mul_f32_e32 v163, v17, v3
	s_wait_dscnt 0x0
	v_mul_f32_e32 v165, v19, v7
	v_mul_f32_e32 v171, v23, v5
	v_fmac_f32_e32 v169, v20, v0
	s_delay_alu instid0(VALU_DEP_3) | instskip(SKIP_1) | instid1(VALU_DEP_2)
	v_dual_mul_f32 v0, v21, v0 :: v_dual_fmac_f32 v165, v18, v6
	v_fmac_f32_e32 v163, v16, v2
	v_fma_f32 v170, v20, v1, -v0
	v_mul_f32_e32 v0, v23, v4
	s_delay_alu instid0(VALU_DEP_1) | instskip(SKIP_1) | instid1(VALU_DEP_1)
	v_fma_f32 v172, v22, v5, -v0
	v_mul_f32_e32 v0, v17, v2
	v_fma_f32 v164, v16, v3, -v0
	v_mul_f32_e32 v0, v19, v6
	v_add_nc_u32_e32 v16, 0x1800, v255
	s_delay_alu instid0(VALU_DEP_2)
	v_fma_f32 v166, v18, v7, -v0
	v_dual_fmac_f32 v171, v22, v4 :: v_dual_add_nc_u32 v18, 0xc00, v255
	ds_load_2addr_b64 v[4:7], v16 offset0:72 offset1:132
	ds_load_2addr_b64 v[0:3], v18 offset0:96 offset1:156
	s_wait_dscnt 0x1
	v_mul_f32_e32 v151, v39, v5
	s_wait_dscnt 0x0
	v_mul_f32_e32 v146, v37, v1
	s_delay_alu instid0(VALU_DEP_1) | instskip(SKIP_1) | instid1(VALU_DEP_1)
	v_fmac_f32_e32 v146, v36, v0
	v_mul_f32_e32 v0, v37, v0
	v_fma_f32 v147, v36, v1, -v0
	v_mul_f32_e32 v0, v39, v4
	v_mul_f32_e32 v36, v25, v3
	s_delay_alu instid0(VALU_DEP_2) | instskip(SKIP_1) | instid1(VALU_DEP_3)
	v_fma_f32 v152, v38, v5, -v0
	v_mul_f32_e32 v0, v25, v2
	v_dual_fmac_f32 v36, v24, v2 :: v_dual_fmac_f32 v151, v38, v4
	v_mul_f32_e32 v38, v27, v7
	s_delay_alu instid0(VALU_DEP_3) | instskip(SKIP_1) | instid1(VALU_DEP_1)
	v_fma_f32 v37, v24, v3, -v0
	v_mul_f32_e32 v0, v27, v6
	v_fma_f32 v39, v26, v7, -v0
	ds_load_2addr_b64 v[0:3], v10 offset0:176 offset1:236
	v_fmac_f32_e32 v38, v26, v6
	ds_load_2addr_b64 v[4:7], v12 offset0:24 offset1:84
	s_wait_dscnt 0x1
	v_mul_f32_e32 v155, v33, v1
	s_wait_dscnt 0x0
	v_mul_f32_e32 v149, v31, v7
	s_delay_alu instid0(VALU_DEP_2) | instskip(NEXT) | instid1(VALU_DEP_2)
	v_dual_mul_f32 v154, v35, v5 :: v_dual_fmac_f32 v155, v32, v0
	v_dual_mul_f32 v0, v33, v0 :: v_dual_fmac_f32 v149, v30, v6
	s_delay_alu instid0(VALU_DEP_2) | instskip(NEXT) | instid1(VALU_DEP_2)
	v_fmac_f32_e32 v154, v34, v4
	v_fma_f32 v153, v32, v1, -v0
	v_dual_mul_f32 v0, v35, v4 :: v_dual_mul_f32 v35, v29, v3
	s_delay_alu instid0(VALU_DEP_1) | instskip(SKIP_1) | instid1(VALU_DEP_3)
	v_fma_f32 v156, v34, v5, -v0
	v_mul_f32_e32 v0, v29, v2
	v_fmac_f32_e32 v35, v28, v2
	s_delay_alu instid0(VALU_DEP_2) | instskip(SKIP_1) | instid1(VALU_DEP_1)
	v_fma_f32 v148, v28, v3, -v0
	v_mul_f32_e32 v0, v31, v6
	v_fma_f32 v150, v30, v7, -v0
	ds_load_2addr_b64 v[0:3], v15 offset0:88 offset1:148
	ds_load_2addr_b64 v[4:7], v16 offset0:192 offset1:252
	s_wait_dscnt 0x1
	v_mul_f32_e32 v21, v41, v1
	s_wait_dscnt 0x0
	v_mul_f32_e32 v29, v43, v5
	v_mul_f32_e32 v19, v49, v3
	s_delay_alu instid0(VALU_DEP_3) | instskip(NEXT) | instid1(VALU_DEP_2)
	v_dual_mul_f32 v22, v51, v7 :: v_dual_fmac_f32 v21, v40, v0
	v_dual_mul_f32 v0, v41, v0 :: v_dual_fmac_f32 v19, v48, v2
	s_delay_alu instid0(VALU_DEP_4) | instskip(NEXT) | instid1(VALU_DEP_2)
	v_fmac_f32_e32 v29, v42, v4
	v_fma_f32 v24, v40, v1, -v0
	v_mul_f32_e32 v0, v43, v4
	s_delay_alu instid0(VALU_DEP_1) | instskip(SKIP_1) | instid1(VALU_DEP_1)
	v_fma_f32 v30, v42, v5, -v0
	v_mul_f32_e32 v0, v49, v2
	v_fma_f32 v20, v48, v3, -v0
	v_mul_f32_e32 v0, v51, v6
	s_delay_alu instid0(VALU_DEP_1)
	v_fma_f32 v23, v50, v7, -v0
	ds_load_2addr_b64 v[0:3], v11 offset0:40 offset1:100
	v_fmac_f32_e32 v22, v50, v6
	ds_load_2addr_b64 v[4:7], v12 offset0:144 offset1:204
	s_wait_dscnt 0x1
	v_mul_f32_e32 v25, v53, v3
	v_mul_f32_e32 v40, v57, v1
	s_wait_dscnt 0x0
	v_mul_f32_e32 v34, v59, v5
	v_mul_f32_e32 v27, v55, v7
	v_fmac_f32_e32 v25, v52, v2
	v_fmac_f32_e32 v40, v56, v0
	s_delay_alu instid0(VALU_DEP_3) | instskip(SKIP_1) | instid1(VALU_DEP_2)
	v_dual_mul_f32 v0, v57, v0 :: v_dual_fmac_f32 v27, v54, v6
	v_fmac_f32_e32 v34, v58, v4
	v_fma_f32 v33, v56, v1, -v0
	v_mul_f32_e32 v0, v59, v4
	v_sub_f32_e32 v59, v168, v172
	s_delay_alu instid0(VALU_DEP_2) | instskip(SKIP_1) | instid1(VALU_DEP_1)
	v_fma_f32 v41, v58, v5, -v0
	v_mul_f32_e32 v0, v53, v2
	v_fma_f32 v26, v52, v3, -v0
	v_mul_f32_e32 v0, v55, v6
	scratch_load_b64 v[5:6], off, off offset:276 th:TH_LOAD_LU ; 8-byte Folded Reload
	v_fma_f32 v28, v54, v7, -v0
	ds_load_2addr_b64 v[0:3], v13 offset0:8 offset1:68
	s_wait_loadcnt_dscnt 0x0
	v_mul_f32_e32 v4, v6, v1
	s_delay_alu instid0(VALU_DEP_1)
	v_fmac_f32_e32 v4, v5, v0
	v_mul_f32_e32 v0, v6, v0
	scratch_load_b64 v[6:7], off, off offset:268 th:TH_LOAD_LU ; 8-byte Folded Reload
	v_fma_f32 v5, v5, v1, -v0
	s_wait_loadcnt 0x0
	v_mul_f32_e32 v56, v7, v3
	v_mul_f32_e32 v0, v7, v2
	s_delay_alu instid0(VALU_DEP_2) | instskip(NEXT) | instid1(VALU_DEP_2)
	v_fmac_f32_e32 v56, v6, v2
	v_fma_f32 v57, v6, v3, -v0
	scratch_load_b64 v[6:7], off, off offset:292 th:TH_LOAD_LU ; 8-byte Folded Reload
	ds_load_2addr_b64 v[0:3], v13 offset0:128 offset1:188
	s_wait_loadcnt_dscnt 0x0
	v_mul_f32_e32 v51, v7, v1
	s_delay_alu instid0(VALU_DEP_1) | instskip(SKIP_1) | instid1(VALU_DEP_1)
	v_fmac_f32_e32 v51, v6, v0
	v_mul_f32_e32 v0, v7, v0
	v_fma_f32 v50, v6, v1, -v0
	scratch_load_b64 v[6:7], off, off offset:284 th:TH_LOAD_LU ; 8-byte Folded Reload
	s_wait_loadcnt 0x0
	v_mul_f32_e32 v48, v7, v3
	v_mul_f32_e32 v0, v7, v2
	s_delay_alu instid0(VALU_DEP_2) | instskip(NEXT) | instid1(VALU_DEP_2)
	v_fmac_f32_e32 v48, v6, v2
	v_fma_f32 v49, v6, v3, -v0
	scratch_load_b64 v[6:7], off, off offset:340 th:TH_LOAD_LU ; 8-byte Folded Reload
	ds_load_2addr_b64 v[0:3], v14 offset0:120 offset1:180
	s_wait_loadcnt_dscnt 0x0
	v_mul_f32_e32 v43, v7, v1
	s_delay_alu instid0(VALU_DEP_1) | instskip(SKIP_1) | instid1(VALU_DEP_1)
	v_fmac_f32_e32 v43, v6, v0
	v_mul_f32_e32 v0, v7, v0
	v_fma_f32 v42, v6, v1, -v0
	scratch_load_b64 v[6:7], off, off offset:332 th:TH_LOAD_LU ; 8-byte Folded Reload
	s_wait_loadcnt 0x0
	v_mul_f32_e32 v31, v7, v3
	v_mul_f32_e32 v0, v7, v2
	s_delay_alu instid0(VALU_DEP_2) | instskip(NEXT) | instid1(VALU_DEP_2)
	v_fmac_f32_e32 v31, v6, v2
	v_fma_f32 v32, v6, v3, -v0
	ds_load_2addr_b64 v[6:9], v255 offset1:60
	s_wait_dscnt 0x0
	v_dual_add_f32 v3, v160, v170 :: v_dual_add_f32 v0, v7, v168
	v_add_f32_e32 v1, v6, v167
	v_add_f32_e32 v17, v169, v4
	s_delay_alu instid0(VALU_DEP_3)
	v_add_f32_e32 v58, v0, v172
	v_add_f32_e32 v0, v168, v172
	;; [unrolled: 1-line block ×5, first 2 shown]
	v_sub_f32_e32 v167, v167, v171
	s_delay_alu instid0(VALU_DEP_2) | instskip(SKIP_1) | instid1(VALU_DEP_2)
	v_fma_f32 v175, -0.5, v1, v6
	v_add_f32_e32 v2, v170, v5
	v_dual_sub_f32 v170, v170, v5 :: v_dual_fmamk_f32 v177, v59, 0xbf5db3d7, v175
	s_delay_alu instid0(VALU_DEP_2) | instskip(SKIP_4) | instid1(VALU_DEP_4)
	v_dual_fmac_f32 v175, 0x3f5db3d7, v59 :: v_dual_fmac_f32 v160, -0.5, v2
	v_dual_add_f32 v2, v159, v169 :: v_dual_sub_f32 v169, v169, v4
	v_fmac_f32_e32 v159, -0.5, v17
	v_add_nc_u32_e32 v17, 0x400, v255
	v_fma_f32 v176, -0.5, v0, v7
	v_add_f32_e32 v171, v2, v4
	s_delay_alu instid0(VALU_DEP_2) | instskip(SKIP_3) | instid1(VALU_DEP_3)
	v_dual_add_f32 v53, v58, v172 :: v_dual_fmamk_f32 v178, v167, 0x3f5db3d7, v176
	v_fmamk_f32 v2, v169, 0x3f5db3d7, v160
	v_fmac_f32_e32 v160, 0xbf5db3d7, v169
	v_fmac_f32_e32 v176, 0xbf5db3d7, v167
	v_dual_add_f32 v52, v168, v171 :: v_dual_mul_f32 v173, 0xbf5db3d7, v2
	s_delay_alu instid0(VALU_DEP_3) | instskip(SKIP_2) | instid1(VALU_DEP_2)
	v_dual_mul_f32 v174, 0.5, v2 :: v_dual_mul_f32 v59, -0.5, v160
	v_fmamk_f32 v2, v170, 0xbf5db3d7, v159
	v_fmac_f32_e32 v159, 0x3f5db3d7, v170
	v_fmac_f32_e32 v173, 0.5, v2
	s_delay_alu instid0(VALU_DEP_4)
	v_fmac_f32_e32 v174, 0x3f5db3d7, v2
	ds_load_2addr_b64 v[4:7], v255 offset0:120 offset1:180
	ds_load_2addr_b64 v[0:3], v17 offset0:112 offset1:172
	global_wb scope:SCOPE_SE
	s_wait_dscnt 0x0
	s_barrier_signal -1
	s_barrier_wait -1
	global_inv scope:SCOPE_SE
	s_clause 0x1
	scratch_load_b32 v179, off, off offset:328 th:TH_LOAD_LU
	scratch_load_b32 v167, off, off offset:300 th:TH_LOAD_LU
	v_dual_add_f32 v54, v177, v173 :: v_dual_add_f32 v55, v178, v174
	v_fmac_f32_e32 v59, 0x3f5db3d7, v159
	s_wait_loadcnt 0x1
	ds_store_2addr_b64 v179, v[52:53], v[54:55] offset1:10
	v_add_f32_e32 v55, v176, v59
	v_sub_f32_e32 v53, v58, v172
	v_mul_f32_e32 v58, 0xbf5db3d7, v160
	v_sub_f32_e32 v52, v168, v171
	s_delay_alu instid0(VALU_DEP_2) | instskip(NEXT) | instid1(VALU_DEP_1)
	v_fmac_f32_e32 v58, -0.5, v159
	v_add_f32_e32 v54, v175, v58
	ds_store_2addr_b64 v179, v[54:55], v[52:53] offset0:20 offset1:30
	v_dual_sub_f32 v52, v177, v173 :: v_dual_sub_f32 v53, v178, v174
	v_dual_sub_f32 v54, v175, v58 :: v_dual_sub_f32 v55, v176, v59
	ds_store_2addr_b64 v179, v[52:53], v[54:55] offset0:40 offset1:50
	v_add_f32_e32 v53, v162, v166
	v_dual_add_f32 v52, v9, v162 :: v_dual_add_f32 v55, v163, v56
	s_delay_alu instid0(VALU_DEP_2) | instskip(SKIP_1) | instid1(VALU_DEP_3)
	v_fmac_f32_e32 v9, -0.5, v53
	v_add_f32_e32 v53, v164, v57
	v_add_f32_e32 v59, v52, v166
	v_sub_f32_e32 v58, v162, v166
	v_add_f32_e32 v52, v8, v161
	v_add_f32_e32 v54, v158, v164
	v_dual_fmac_f32 v158, -0.5, v53 :: v_dual_add_f32 v53, v157, v163
	v_dual_fmac_f32 v157, -0.5, v55 :: v_dual_sub_f32 v162, v164, v57
	v_sub_f32_e32 v160, v161, v165
	v_add_f32_e32 v159, v52, v165
	s_delay_alu instid0(VALU_DEP_2) | instskip(SKIP_2) | instid1(VALU_DEP_2)
	v_dual_add_f32 v57, v54, v57 :: v_dual_fmamk_f32 v166, v160, 0x3f5db3d7, v9
	v_dual_add_f32 v52, v161, v165 :: v_dual_sub_f32 v161, v163, v56
	v_add_f32_e32 v56, v53, v56
	v_fmamk_f32 v53, v161, 0x3f5db3d7, v158
	s_delay_alu instid0(VALU_DEP_1) | instskip(SKIP_3) | instid1(VALU_DEP_3)
	v_mul_f32_e32 v163, 0xbf5db3d7, v53
	v_dual_mul_f32 v164, 0.5, v53 :: v_dual_fmamk_f32 v53, v162, 0xbf5db3d7, v157
	v_fmac_f32_e32 v157, 0x3f5db3d7, v162
	v_dual_fmac_f32 v9, 0xbf5db3d7, v160 :: v_dual_fmac_f32 v158, 0xbf5db3d7, v161
	v_fmac_f32_e32 v164, 0x3f5db3d7, v53
	v_fmac_f32_e32 v163, 0.5, v53
	v_add_f32_e32 v53, v59, v57
	s_delay_alu instid0(VALU_DEP_3) | instskip(SKIP_1) | instid1(VALU_DEP_1)
	v_add_f32_e32 v55, v166, v164
	v_fma_f32 v8, -0.5, v52, v8
	v_dual_add_f32 v52, v159, v56 :: v_dual_fmamk_f32 v165, v58, 0xbf5db3d7, v8
	v_fmac_f32_e32 v8, 0x3f5db3d7, v58
	s_delay_alu instid0(VALU_DEP_2) | instskip(SKIP_4) | instid1(VALU_DEP_1)
	v_add_f32_e32 v54, v165, v163
	s_wait_loadcnt 0x0
	ds_store_2addr_b64 v167, v[52:53], v[54:55] offset1:10
	v_sub_f32_e32 v53, v59, v57
	v_dual_mul_f32 v57, 0xbf5db3d7, v158 :: v_dual_sub_f32 v52, v159, v56
	v_dual_mul_f32 v56, -0.5, v158 :: v_dual_fmac_f32 v57, -0.5, v157
	s_delay_alu instid0(VALU_DEP_1) | instskip(NEXT) | instid1(VALU_DEP_2)
	v_fmac_f32_e32 v56, 0x3f5db3d7, v157
	v_add_f32_e32 v54, v8, v57
	s_delay_alu instid0(VALU_DEP_2)
	v_dual_sub_f32 v8, v8, v57 :: v_dual_add_f32 v55, v9, v56
	v_add_f32_e32 v57, v151, v154
	ds_store_2addr_b64 v167, v[54:55], v[52:53] offset0:20 offset1:30
	v_dual_sub_f32 v52, v165, v163 :: v_dual_sub_f32 v53, v166, v164
	v_sub_f32_e32 v55, v152, v156
	v_sub_f32_e32 v9, v9, v56
	v_fma_f32 v57, -0.5, v57, v4
	v_add_f32_e32 v56, v4, v151
	v_sub_f32_e32 v58, v151, v154
	ds_store_2addr_b64 v167, v[52:53], v[8:9] offset0:40 offset1:50
	v_add_f32_e32 v9, v147, v153
	v_add_f32_e32 v53, v5, v152
	;; [unrolled: 1-line block ×3, first 2 shown]
	s_delay_alu instid0(VALU_DEP_3) | instskip(NEXT) | instid1(VALU_DEP_3)
	v_add_f32_e32 v59, v9, v50
	v_add_f32_e32 v53, v53, v156
	;; [unrolled: 1-line block ×3, first 2 shown]
	v_dual_sub_f32 v50, v153, v50 :: v_dual_fmamk_f32 v153, v55, 0xbf5db3d7, v57
	v_dual_fmac_f32 v147, -0.5, v8 :: v_dual_add_f32 v8, v146, v155
	s_delay_alu instid0(VALU_DEP_3) | instskip(SKIP_2) | instid1(VALU_DEP_4)
	v_fma_f32 v54, -0.5, v54, v5
	v_dual_add_f32 v56, v56, v154 :: v_dual_fmac_f32 v57, 0x3f5db3d7, v55
	v_add_f32_e32 v5, v53, v59
	v_add_f32_e32 v52, v8, v51
	s_delay_alu instid0(VALU_DEP_4)
	v_fmamk_f32 v154, v58, 0x3f5db3d7, v54
	v_add_f32_e32 v8, v155, v51
	v_sub_f32_e32 v51, v155, v51
	scratch_load_b32 v155, off, off offset:312 th:TH_LOAD_LU ; 4-byte Folded Reload
	v_fmac_f32_e32 v54, 0xbf5db3d7, v58
	v_fmac_f32_e32 v146, -0.5, v8
	v_fmamk_f32 v8, v51, 0x3f5db3d7, v147
	v_fmac_f32_e32 v147, 0xbf5db3d7, v51
	s_delay_alu instid0(VALU_DEP_2) | instskip(NEXT) | instid1(VALU_DEP_2)
	v_mul_f32_e32 v151, 0xbf5db3d7, v8
	v_dual_mul_f32 v152, 0.5, v8 :: v_dual_mul_f32 v51, -0.5, v147
	v_fmamk_f32 v8, v50, 0xbf5db3d7, v146
	v_fmac_f32_e32 v146, 0x3f5db3d7, v50
	s_delay_alu instid0(VALU_DEP_2) | instskip(NEXT) | instid1(VALU_DEP_4)
	v_dual_mul_f32 v50, 0xbf5db3d7, v147 :: v_dual_fmac_f32 v151, 0.5, v8
	v_fmac_f32_e32 v152, 0x3f5db3d7, v8
	v_add_f32_e32 v4, v56, v52
	s_delay_alu instid0(VALU_DEP_2)
	v_dual_add_f32 v8, v153, v151 :: v_dual_add_f32 v9, v154, v152
	s_wait_loadcnt 0x0
	ds_store_2addr_b64 v155, v[4:5], v[8:9] offset1:10
	v_sub_f32_e32 v5, v53, v59
	v_dual_sub_f32 v53, v148, v49 :: v_dual_fmac_f32 v50, -0.5, v146
	v_dual_fmac_f32 v51, 0x3f5db3d7, v146 :: v_dual_sub_f32 v4, v56, v52
	s_delay_alu instid0(VALU_DEP_1)
	v_dual_add_f32 v8, v57, v50 :: v_dual_add_f32 v9, v54, v51
	ds_store_2addr_b64 v155, v[8:9], v[4:5] offset0:20 offset1:30
	v_sub_f32_e32 v8, v57, v50
	scratch_load_b32 v57, off, off offset:316 th:TH_LOAD_LU ; 4-byte Folded Reload
	v_dual_sub_f32 v4, v153, v151 :: v_dual_sub_f32 v5, v154, v152
	v_sub_f32_e32 v9, v54, v51
	v_sub_f32_e32 v50, v38, v149
	ds_store_2addr_b64 v155, v[4:5], v[8:9] offset0:40 offset1:50
	v_add_f32_e32 v4, v39, v150
	v_add_f32_e32 v5, v7, v39
	v_dual_add_f32 v8, v36, v35 :: v_dual_add_f32 v9, v37, v148
	v_sub_f32_e32 v39, v39, v150
	s_delay_alu instid0(VALU_DEP_4) | instskip(SKIP_1) | instid1(VALU_DEP_2)
	v_fmac_f32_e32 v7, -0.5, v4
	v_add_f32_e32 v4, v35, v48
	v_dual_sub_f32 v35, v35, v48 :: v_dual_fmamk_f32 v56, v50, 0x3f5db3d7, v7
	s_delay_alu instid0(VALU_DEP_2) | instskip(SKIP_2) | instid1(VALU_DEP_2)
	v_dual_fmac_f32 v7, 0xbf5db3d7, v50 :: v_dual_fmac_f32 v36, -0.5, v4
	v_add_f32_e32 v4, v148, v49
	v_add_f32_e32 v49, v9, v49
	v_dual_fmac_f32 v37, -0.5, v4 :: v_dual_add_f32 v4, v6, v38
	s_delay_alu instid0(VALU_DEP_1) | instskip(NEXT) | instid1(VALU_DEP_1)
	v_dual_add_f32 v51, v4, v149 :: v_dual_fmamk_f32 v4, v35, 0x3f5db3d7, v37
	v_dual_fmac_f32 v37, 0xbf5db3d7, v35 :: v_dual_mul_f32 v54, 0xbf5db3d7, v4
	v_mul_f32_e32 v55, 0.5, v4
	s_delay_alu instid0(VALU_DEP_2) | instskip(SKIP_3) | instid1(VALU_DEP_3)
	v_mul_f32_e32 v35, -0.5, v37
	v_dual_mul_f32 v37, 0xbf5db3d7, v37 :: v_dual_fmamk_f32 v4, v53, 0xbf5db3d7, v36
	v_fmac_f32_e32 v36, 0x3f5db3d7, v53
	v_add_f32_e32 v48, v8, v48
	v_fmac_f32_e32 v54, 0.5, v4
	s_delay_alu instid0(VALU_DEP_3) | instskip(SKIP_1) | instid1(VALU_DEP_4)
	v_dual_fmac_f32 v35, 0x3f5db3d7, v36 :: v_dual_add_f32 v38, v38, v149
	v_dual_fmac_f32 v55, 0x3f5db3d7, v4 :: v_dual_add_f32 v52, v5, v150
	v_add_f32_e32 v4, v51, v48
	v_fmac_f32_e32 v37, -0.5, v36
	s_delay_alu instid0(VALU_DEP_4) | instskip(NEXT) | instid1(VALU_DEP_4)
	v_fma_f32 v6, -0.5, v38, v6
	v_add_f32_e32 v9, v56, v55
	v_dual_add_f32 v5, v52, v49 :: v_dual_add_f32 v36, v29, v34
	s_delay_alu instid0(VALU_DEP_3) | instskip(SKIP_1) | instid1(VALU_DEP_3)
	v_fmamk_f32 v38, v39, 0xbf5db3d7, v6
	v_fmac_f32_e32 v6, 0x3f5db3d7, v39
	v_fma_f32 v36, -0.5, v36, v0
	s_delay_alu instid0(VALU_DEP_3)
	v_add_f32_e32 v8, v38, v54
	s_wait_loadcnt 0x0
	ds_store_2addr_b64 v57, v[4:5], v[8:9] offset1:10
	v_dual_sub_f32 v4, v51, v48 :: v_dual_sub_f32 v5, v52, v49
	v_dual_add_f32 v9, v7, v35 :: v_dual_add_f32 v8, v6, v37
	ds_store_2addr_b64 v57, v[8:9], v[4:5] offset0:20 offset1:30
	v_dual_add_f32 v8, v1, v30 :: v_dual_add_f32 v9, v30, v41
	v_dual_sub_f32 v30, v30, v41 :: v_dual_sub_f32 v5, v7, v35
	v_add_f32_e32 v35, v0, v29
	s_delay_alu instid0(VALU_DEP_3)
	v_add_f32_e32 v8, v8, v41
	scratch_load_b32 v41, off, off offset:320 th:TH_LOAD_LU ; 4-byte Folded Reload
	v_dual_sub_f32 v4, v6, v37 :: v_dual_sub_f32 v7, v56, v55
	v_add_f32_e32 v35, v35, v34
	v_sub_f32_e32 v29, v29, v34
	v_fma_f32 v9, -0.5, v9, v1
	v_sub_f32_e32 v6, v38, v54
	v_fmamk_f32 v39, v30, 0xbf5db3d7, v36
	v_fmac_f32_e32 v36, 0x3f5db3d7, v30
	ds_store_2addr_b64 v57, v[6:7], v[4:5] offset0:40 offset1:50
	v_dual_add_f32 v4, v33, v42 :: v_dual_add_f32 v5, v24, v33
	v_sub_f32_e32 v33, v33, v42
	s_delay_alu instid0(VALU_DEP_2) | instskip(SKIP_1) | instid1(VALU_DEP_4)
	v_dual_sub_f32 v7, v40, v43 :: v_dual_fmac_f32 v24, -0.5, v4
	v_add_f32_e32 v4, v21, v40
	v_add_f32_e32 v34, v5, v42
	s_delay_alu instid0(VALU_DEP_2)
	v_add_f32_e32 v6, v4, v43
	v_add_f32_e32 v4, v40, v43
	v_fmamk_f32 v40, v29, 0x3f5db3d7, v9
	v_fmac_f32_e32 v9, 0xbf5db3d7, v29
	scratch_load_b32 v29, off, off offset:324 th:TH_LOAD_LU ; 4-byte Folded Reload
	v_dual_add_f32 v0, v35, v6 :: v_dual_fmac_f32 v21, -0.5, v4
	v_dual_fmamk_f32 v4, v7, 0x3f5db3d7, v24 :: v_dual_add_f32 v1, v8, v34
	s_delay_alu instid0(VALU_DEP_1) | instskip(SKIP_1) | instid1(VALU_DEP_4)
	v_mul_f32_e32 v37, 0xbf5db3d7, v4
	v_mul_f32_e32 v38, 0.5, v4
	v_fmamk_f32 v4, v33, 0xbf5db3d7, v21
	v_fmac_f32_e32 v21, 0x3f5db3d7, v33
	s_delay_alu instid0(VALU_DEP_2) | instskip(NEXT) | instid1(VALU_DEP_4)
	v_dual_fmac_f32 v24, 0xbf5db3d7, v7 :: v_dual_fmac_f32 v37, 0.5, v4
	v_fmac_f32_e32 v38, 0x3f5db3d7, v4
	s_delay_alu instid0(VALU_DEP_2) | instskip(NEXT) | instid1(VALU_DEP_2)
	v_dual_mul_f32 v7, -0.5, v24 :: v_dual_add_f32 v4, v39, v37
	v_add_f32_e32 v5, v40, v38
	s_delay_alu instid0(VALU_DEP_2)
	v_fmac_f32_e32 v7, 0x3f5db3d7, v21
	s_wait_loadcnt 0x1
	ds_store_2addr_b64 v41, v[0:1], v[4:5] offset1:10
	v_sub_f32_e32 v0, v35, v6
	v_mul_f32_e32 v6, 0xbf5db3d7, v24
	v_dual_sub_f32 v24, v26, v32 :: v_dual_add_f32 v5, v9, v7
	s_delay_alu instid0(VALU_DEP_2) | instskip(NEXT) | instid1(VALU_DEP_1)
	v_dual_sub_f32 v1, v8, v34 :: v_dual_fmac_f32 v6, -0.5, v21
	v_add_f32_e32 v4, v36, v6
	ds_store_2addr_b64 v41, v[4:5], v[0:1] offset0:20 offset1:30
	v_sub_f32_e32 v1, v40, v38
	v_dual_sub_f32 v4, v36, v6 :: v_dual_sub_f32 v5, v9, v7
	v_sub_f32_e32 v6, v22, v27
	v_sub_f32_e32 v0, v39, v37
	;; [unrolled: 1-line block ×3, first 2 shown]
	v_add_f32_e32 v7, v22, v27
	ds_store_2addr_b64 v41, v[0:1], v[4:5] offset0:40 offset1:50
	v_add_f32_e32 v0, v23, v28
	v_add_f32_e32 v1, v3, v23
	v_dual_add_f32 v4, v19, v25 :: v_dual_add_f32 v5, v20, v26
	s_delay_alu instid0(VALU_DEP_3) | instskip(NEXT) | instid1(VALU_DEP_3)
	v_fmac_f32_e32 v3, -0.5, v0
	v_add_f32_e32 v21, v1, v28
	s_delay_alu instid0(VALU_DEP_2) | instskip(SKIP_1) | instid1(VALU_DEP_1)
	v_dual_add_f32 v23, v4, v31 :: v_dual_fmamk_f32 v28, v6, 0x3f5db3d7, v3
	v_dual_fmac_f32 v3, 0xbf5db3d7, v6 :: v_dual_add_f32 v0, v25, v31
	v_fmac_f32_e32 v19, -0.5, v0
	v_add_f32_e32 v0, v26, v32
	s_delay_alu instid0(VALU_DEP_1) | instskip(SKIP_3) | instid1(VALU_DEP_3)
	v_fmac_f32_e32 v20, -0.5, v0
	v_add_f32_e32 v0, v2, v22
	v_sub_f32_e32 v22, v25, v31
	v_fma_f32 v2, -0.5, v7, v2
	v_dual_add_f32 v25, v5, v32 :: v_dual_add_f32 v8, v0, v27
	s_delay_alu instid0(VALU_DEP_3) | instskip(NEXT) | instid1(VALU_DEP_3)
	v_fmamk_f32 v0, v22, 0x3f5db3d7, v20
	v_fmamk_f32 v7, v9, 0xbf5db3d7, v2
	s_delay_alu instid0(VALU_DEP_3) | instskip(SKIP_1) | instid1(VALU_DEP_4)
	v_dual_add_f32 v1, v21, v25 :: v_dual_fmac_f32 v20, 0xbf5db3d7, v22
	v_fmac_f32_e32 v2, 0x3f5db3d7, v9
	v_mul_f32_e32 v26, 0xbf5db3d7, v0
	v_dual_mul_f32 v27, 0.5, v0 :: v_dual_fmamk_f32 v0, v24, 0xbf5db3d7, v19
	v_fmac_f32_e32 v19, 0x3f5db3d7, v24
	v_mul_f32_e32 v6, -0.5, v20
	s_delay_alu instid0(VALU_DEP_3) | instskip(NEXT) | instid1(VALU_DEP_4)
	v_fmac_f32_e32 v26, 0.5, v0
	v_dual_fmac_f32 v27, 0x3f5db3d7, v0 :: v_dual_add_f32 v0, v8, v23
	s_delay_alu instid0(VALU_DEP_3) | instskip(NEXT) | instid1(VALU_DEP_2)
	v_fmac_f32_e32 v6, 0x3f5db3d7, v19
	v_dual_add_f32 v4, v7, v26 :: v_dual_add_f32 v5, v28, v27
	s_wait_loadcnt 0x0
	ds_store_2addr_b64 v29, v[0:1], v[4:5] offset1:10
	v_sub_f32_e32 v0, v8, v23
	v_dual_mul_f32 v8, 0xbf5db3d7, v20 :: v_dual_sub_f32 v1, v21, v25
	s_delay_alu instid0(VALU_DEP_1) | instskip(NEXT) | instid1(VALU_DEP_1)
	v_dual_add_f32 v5, v3, v6 :: v_dual_fmac_f32 v8, -0.5, v19
	v_add_f32_e32 v4, v2, v8
	ds_store_2addr_b64 v29, v[4:5], v[0:1] offset0:20 offset1:30
	v_dual_sub_f32 v1, v3, v6 :: v_dual_sub_f32 v0, v2, v8
	v_dual_sub_f32 v2, v7, v26 :: v_dual_sub_f32 v3, v28, v27
	ds_store_2addr_b64 v29, v[2:3], v[0:1] offset0:40 offset1:50
	global_wb scope:SCOPE_SE
	s_wait_dscnt 0x0
	s_barrier_signal -1
	s_barrier_wait -1
	global_inv scope:SCOPE_SE
	ds_load_2addr_b64 v[0:3], v144 offset0:104 offset1:164
	ds_load_2addr_b64 v[4:7], v16 offset0:72 offset1:132
	s_wait_dscnt 0x1
	v_mul_f32_e32 v43, v45, v1
	s_wait_dscnt 0x0
	v_dual_mul_f32 v33, v45, v3 :: v_dual_mul_f32 v54, v143, v5
	v_mul_f32_e32 v35, v139, v7
	s_delay_alu instid0(VALU_DEP_3) | instskip(NEXT) | instid1(VALU_DEP_3)
	v_fmac_f32_e32 v43, v44, v0
	v_dual_mul_f32 v0, v45, v0 :: v_dual_fmac_f32 v33, v44, v2
	s_delay_alu instid0(VALU_DEP_4) | instskip(NEXT) | instid1(VALU_DEP_4)
	v_fmac_f32_e32 v54, v142, v4
	v_fmac_f32_e32 v35, v138, v6
	s_delay_alu instid0(VALU_DEP_3) | instskip(SKIP_1) | instid1(VALU_DEP_1)
	v_fma_f32 v48, v44, v1, -v0
	v_mul_f32_e32 v0, v45, v2
	v_fma_f32 v40, v44, v3, -v0
	ds_load_2addr_b64 v[0:3], v145 offset0:80 offset1:140
	s_wait_dscnt 0x0
	v_mul_f32_e32 v146, v47, v1
	s_delay_alu instid0(VALU_DEP_1) | instskip(NEXT) | instid1(VALU_DEP_1)
	v_dual_mul_f32 v51, v47, v3 :: v_dual_fmac_f32 v146, v46, v0
	v_dual_mul_f32 v0, v47, v0 :: v_dual_fmac_f32 v51, v46, v2
	s_delay_alu instid0(VALU_DEP_1) | instskip(SKIP_1) | instid1(VALU_DEP_1)
	v_fma_f32 v147, v46, v1, -v0
	v_mul_f32_e32 v0, v47, v2
	v_fma_f32 v52, v46, v3, -v0
	ds_load_2addr_b64 v[0:3], v10 offset0:56 offset1:116
	s_wait_dscnt 0x0
	v_mul_f32_e32 v148, v61, v1
	s_delay_alu instid0(VALU_DEP_1) | instskip(NEXT) | instid1(VALU_DEP_1)
	v_dual_mul_f32 v53, v61, v3 :: v_dual_fmac_f32 v148, v60, v0
	v_dual_mul_f32 v0, v61, v0 :: v_dual_fmac_f32 v53, v60, v2
	s_delay_alu instid0(VALU_DEP_1) | instskip(SKIP_1) | instid1(VALU_DEP_1)
	;; [unrolled: 10-line block ×3, first 2 shown]
	v_fma_f32 v151, v62, v1, -v0
	v_mul_f32_e32 v0, v63, v2
	v_fma_f32 v62, v62, v3, -v0
	ds_load_2addr_b64 v[0:3], v18 offset0:96 offset1:156
	s_wait_dscnt 0x0
	v_mul_f32_e32 v29, v141, v1
	v_mul_f32_e32 v23, v137, v3
	s_delay_alu instid0(VALU_DEP_2) | instskip(NEXT) | instid1(VALU_DEP_2)
	v_fmac_f32_e32 v29, v140, v0
	v_dual_mul_f32 v0, v141, v0 :: v_dual_fmac_f32 v23, v136, v2
	s_delay_alu instid0(VALU_DEP_1) | instskip(SKIP_1) | instid1(VALU_DEP_1)
	v_fma_f32 v39, v140, v1, -v0
	v_mul_f32_e32 v0, v143, v4
	v_fma_f32 v55, v142, v5, -v0
	v_mul_f32_e32 v0, v137, v2
	s_delay_alu instid0(VALU_DEP_1) | instskip(SKIP_1) | instid1(VALU_DEP_1)
	v_fma_f32 v25, v136, v3, -v0
	v_mul_f32_e32 v0, v139, v6
	v_fma_f32 v37, v138, v7, -v0
	ds_load_2addr_b64 v[0:3], v10 offset0:176 offset1:236
	ds_load_2addr_b64 v[4:7], v12 offset0:24 offset1:84
	s_wait_dscnt 0x1
	v_mul_f32_e32 v57, v117, v1
	v_mul_f32_e32 v41, v93, v3
	s_wait_dscnt 0x0
	v_mul_f32_e32 v63, v119, v5
	s_delay_alu instid0(VALU_DEP_3) | instskip(NEXT) | instid1(VALU_DEP_3)
	v_dual_mul_f32 v46, v95, v7 :: v_dual_fmac_f32 v57, v116, v0
	v_dual_mul_f32 v0, v117, v0 :: v_dual_fmac_f32 v41, v92, v2
	s_delay_alu instid0(VALU_DEP_3) | instskip(NEXT) | instid1(VALU_DEP_3)
	v_fmac_f32_e32 v63, v118, v4
	v_fmac_f32_e32 v46, v94, v6
	s_delay_alu instid0(VALU_DEP_3) | instskip(SKIP_1) | instid1(VALU_DEP_1)
	v_fma_f32 v58, v116, v1, -v0
	v_mul_f32_e32 v0, v119, v4
	v_fma_f32 v116, v118, v5, -v0
	v_mul_f32_e32 v0, v93, v2
	s_delay_alu instid0(VALU_DEP_1) | instskip(SKIP_1) | instid1(VALU_DEP_1)
	v_fma_f32 v42, v92, v3, -v0
	v_mul_f32_e32 v0, v95, v6
	v_fma_f32 v49, v94, v7, -v0
	ds_load_2addr_b64 v[0:3], v15 offset0:88 offset1:148
	ds_load_2addr_b64 v[4:7], v16 offset0:192 offset1:252
	s_wait_dscnt 0x1
	v_mul_f32_e32 v21, v81, v1
	s_wait_dscnt 0x0
	v_dual_mul_f32 v19, v77, v3 :: v_dual_mul_f32 v32, v83, v5
	s_delay_alu instid0(VALU_DEP_2) | instskip(NEXT) | instid1(VALU_DEP_2)
	v_dual_mul_f32 v24, v79, v7 :: v_dual_fmac_f32 v21, v80, v0
	v_dual_mul_f32 v0, v81, v0 :: v_dual_fmac_f32 v19, v76, v2
	s_delay_alu instid0(VALU_DEP_3) | instskip(NEXT) | instid1(VALU_DEP_3)
	v_fmac_f32_e32 v32, v82, v4
	v_fmac_f32_e32 v24, v78, v6
	s_delay_alu instid0(VALU_DEP_3) | instskip(SKIP_1) | instid1(VALU_DEP_1)
	v_fma_f32 v22, v80, v1, -v0
	v_mul_f32_e32 v0, v83, v4
	v_fma_f32 v34, v82, v5, -v0
	v_mul_f32_e32 v0, v77, v2
	s_delay_alu instid0(VALU_DEP_1) | instskip(SKIP_1) | instid1(VALU_DEP_1)
	v_fma_f32 v20, v76, v3, -v0
	v_mul_f32_e32 v0, v79, v6
	v_fma_f32 v26, v78, v7, -v0
	ds_load_2addr_b64 v[0:3], v11 offset0:40 offset1:100
	ds_load_2addr_b64 v[4:7], v12 offset0:144 offset1:204
	s_wait_dscnt 0x1
	v_mul_f32_e32 v44, v73, v1
	s_wait_dscnt 0x0
	v_mul_f32_e32 v30, v67, v7
	s_delay_alu instid0(VALU_DEP_2) | instskip(SKIP_1) | instid1(VALU_DEP_3)
	v_dual_mul_f32 v27, v65, v3 :: v_dual_fmac_f32 v44, v72, v0
	v_mul_f32_e32 v0, v73, v0
	v_fmac_f32_e32 v30, v66, v6
	s_delay_alu instid0(VALU_DEP_3) | instskip(NEXT) | instid1(VALU_DEP_3)
	v_fmac_f32_e32 v27, v64, v2
	v_fma_f32 v45, v72, v1, -v0
	v_mul_f32_e32 v0, v75, v4
	s_delay_alu instid0(VALU_DEP_1) | instskip(SKIP_1) | instid1(VALU_DEP_1)
	v_fma_f32 v47, v74, v5, -v0
	v_mul_f32_e32 v0, v65, v2
	v_fma_f32 v28, v64, v3, -v0
	v_mul_f32_e32 v0, v67, v6
	s_delay_alu instid0(VALU_DEP_1) | instskip(SKIP_4) | instid1(VALU_DEP_1)
	v_fma_f32 v31, v66, v7, -v0
	scratch_load_b64 v[6:7], off, off offset:396 th:TH_LOAD_LU ; 8-byte Folded Reload
	ds_load_2addr_b64 v[0:3], v13 offset0:8 offset1:68
	s_wait_dscnt 0x0
	v_mul_f32_e32 v72, v228, v3
	v_fmac_f32_e32 v72, v227, v2
	v_mul_f32_e32 v50, v75, v5
	s_delay_alu instid0(VALU_DEP_1) | instskip(SKIP_1) | instid1(VALU_DEP_1)
	v_fmac_f32_e32 v50, v74, v4
	v_mul_f32_e32 v4, v228, v1
	v_fmac_f32_e32 v4, v227, v0
	v_mul_f32_e32 v0, v228, v0
	s_delay_alu instid0(VALU_DEP_1) | instskip(SKIP_1) | instid1(VALU_DEP_2)
	v_fma_f32 v5, v227, v1, -v0
	v_mul_f32_e32 v0, v228, v2
	v_sub_f32_e32 v92, v149, v5
	s_delay_alu instid0(VALU_DEP_2) | instskip(SKIP_3) | instid1(VALU_DEP_1)
	v_fma_f32 v73, v227, v3, -v0
	ds_load_2addr_b64 v[0:3], v13 offset0:128 offset1:188
	s_wait_loadcnt_dscnt 0x0
	v_mul_f32_e32 v66, v7, v1
	v_fmac_f32_e32 v66, v6, v0
	v_mul_f32_e32 v0, v7, v0
	v_sub_f32_e32 v76, v147, v151
	s_delay_alu instid0(VALU_DEP_2) | instskip(SKIP_4) | instid1(VALU_DEP_2)
	v_fma_f32 v67, v6, v1, -v0
	scratch_load_b64 v[6:7], off, off offset:404 th:TH_LOAD_LU ; 8-byte Folded Reload
	s_wait_loadcnt 0x0
	v_mul_f32_e32 v64, v7, v3
	v_mul_f32_e32 v0, v7, v2
	v_fmac_f32_e32 v64, v6, v2
	s_delay_alu instid0(VALU_DEP_2) | instskip(SKIP_4) | instid1(VALU_DEP_1)
	v_fma_f32 v65, v6, v3, -v0
	scratch_load_b64 v[6:7], off, off offset:388 th:TH_LOAD_LU ; 8-byte Folded Reload
	ds_load_2addr_b64 v[0:3], v14 offset0:120 offset1:180
	s_wait_loadcnt_dscnt 0x0
	v_mul_f32_e32 v59, v7, v1
	v_fmac_f32_e32 v59, v6, v0
	v_mul_f32_e32 v0, v7, v0
	s_delay_alu instid0(VALU_DEP_1) | instskip(SKIP_4) | instid1(VALU_DEP_2)
	v_fma_f32 v60, v6, v1, -v0
	scratch_load_b64 v[6:7], off, off offset:376 th:TH_LOAD_LU ; 8-byte Folded Reload
	s_wait_loadcnt 0x0
	v_mul_f32_e32 v36, v7, v3
	v_mul_f32_e32 v0, v7, v2
	v_fmac_f32_e32 v36, v6, v2
	s_delay_alu instid0(VALU_DEP_2) | instskip(SKIP_2) | instid1(VALU_DEP_1)
	v_fma_f32 v38, v6, v3, -v0
	ds_load_2addr_b64 v[6:9], v255 offset1:60
	v_dual_add_f32 v3, v48, v149 :: v_dual_add_f32 v2, v147, v151
	v_add_f32_e32 v93, v3, v5
	s_wait_dscnt 0x0
	v_dual_add_f32 v1, v7, v147 :: v_dual_add_f32 v0, v6, v146
	s_delay_alu instid0(VALU_DEP_3) | instskip(NEXT) | instid1(VALU_DEP_2)
	v_fma_f32 v118, -0.5, v2, v7
	v_add_f32_e32 v77, v1, v151
	v_dual_add_f32 v1, v149, v5 :: v_dual_sub_f32 v82, v148, v4
	s_delay_alu instid0(VALU_DEP_2) | instskip(NEXT) | instid1(VALU_DEP_2)
	v_dual_add_f32 v78, v43, v148 :: v_dual_add_f32 v79, v77, v93
	v_dual_fmac_f32 v48, -0.5, v1 :: v_dual_add_f32 v1, v148, v4
	s_delay_alu instid0(VALU_DEP_2) | instskip(NEXT) | instid1(VALU_DEP_2)
	v_add_f32_e32 v83, v78, v4
	v_dual_fmac_f32 v43, -0.5, v1 :: v_dual_add_f32 v74, v0, v150
	v_add_f32_e32 v0, v146, v150
	s_delay_alu instid0(VALU_DEP_4)
	v_fmamk_f32 v1, v82, 0x3f5db3d7, v48
	v_sub_f32_e32 v75, v146, v150
	v_fmac_f32_e32 v48, 0xbf5db3d7, v82
	v_add_f32_e32 v78, v74, v83
	v_fma_f32 v117, -0.5, v0, v6
	v_mul_f32_e32 v94, 0xbf5db3d7, v1
	v_mul_f32_e32 v95, 0.5, v1
	v_fmamk_f32 v1, v92, 0xbf5db3d7, v43
	v_fmamk_f32 v136, v75, 0x3f5db3d7, v118
	;; [unrolled: 1-line block ×3, first 2 shown]
	v_fmac_f32_e32 v117, 0x3f5db3d7, v76
	s_delay_alu instid0(VALU_DEP_4) | instskip(SKIP_4) | instid1(VALU_DEP_4)
	v_dual_fmac_f32 v43, 0x3f5db3d7, v92 :: v_dual_fmac_f32 v94, 0.5, v1
	v_fmac_f32_e32 v95, 0x3f5db3d7, v1
	v_mul_f32_e32 v76, 0xbf5db3d7, v48
	v_mul_f32_e32 v48, -0.5, v48
	v_fmac_f32_e32 v118, 0xbf5db3d7, v75
	v_dual_add_f32 v80, v119, v94 :: v_dual_add_f32 v81, v136, v95
	s_delay_alu instid0(VALU_DEP_4) | instskip(NEXT) | instid1(VALU_DEP_4)
	v_fmac_f32_e32 v76, -0.5, v43
	v_fmac_f32_e32 v48, 0x3f5db3d7, v43
	ds_load_2addr_b64 v[4:7], v255 offset0:120 offset1:180
	ds_load_2addr_b64 v[0:3], v17 offset0:112 offset1:172
	global_wb scope:SCOPE_SE
	s_wait_dscnt 0x0
	s_barrier_signal -1
	s_barrier_wait -1
	global_inv scope:SCOPE_SE
	ds_store_2addr_b64 v255, v[78:79], v[80:81] offset1:60
	v_dual_sub_f32 v78, v74, v83 :: v_dual_sub_f32 v79, v77, v93
	v_add_f32_e32 v74, v117, v76
	v_add_f32_e32 v75, v118, v48
	v_sub_f32_e32 v76, v117, v76
	v_sub_f32_e32 v77, v118, v48
	v_dual_add_f32 v43, v52, v62 :: v_dual_add_f32 v48, v9, v52
	ds_store_2addr_b64 v255, v[74:75], v[78:79] offset0:120 offset1:180
	v_dual_sub_f32 v74, v119, v94 :: v_dual_sub_f32 v75, v136, v95
	v_fmac_f32_e32 v9, -0.5, v43
	v_add_f32_e32 v43, v8, v51
	v_add_f32_e32 v48, v48, v62
	ds_store_2addr_b64 v17, v[74:75], v[76:77] offset0:112 offset1:172
	v_add_f32_e32 v74, v51, v61
	v_sub_f32_e32 v75, v51, v61
	v_add_f32_e32 v51, v56, v73
	v_dual_add_f32 v43, v43, v61 :: v_dual_sub_f32 v76, v52, v62
	v_dual_add_f32 v52, v40, v56 :: v_dual_add_f32 v61, v33, v53
	s_delay_alu instid0(VALU_DEP_3) | instskip(SKIP_2) | instid1(VALU_DEP_3)
	v_dual_fmac_f32 v40, -0.5, v51 :: v_dual_add_f32 v51, v53, v72
	v_dual_sub_f32 v53, v53, v72 :: v_dual_sub_f32 v56, v56, v73
	v_fma_f32 v8, -0.5, v74, v8
	v_dual_add_f32 v72, v61, v72 :: v_dual_fmac_f32 v33, -0.5, v51
	s_delay_alu instid0(VALU_DEP_3) | instskip(SKIP_1) | instid1(VALU_DEP_4)
	v_fmamk_f32 v51, v53, 0x3f5db3d7, v40
	v_add_f32_e32 v73, v52, v73
	v_fmamk_f32 v74, v76, 0xbf5db3d7, v8
	v_fmamk_f32 v79, v75, 0x3f5db3d7, v9
	s_delay_alu instid0(VALU_DEP_4) | instskip(SKIP_4) | instid1(VALU_DEP_4)
	v_dual_fmac_f32 v40, 0xbf5db3d7, v53 :: v_dual_mul_f32 v77, 0xbf5db3d7, v51
	v_dual_mul_f32 v78, 0.5, v51 :: v_dual_fmamk_f32 v51, v56, 0xbf5db3d7, v33
	v_dual_add_f32 v52, v48, v73 :: v_dual_fmac_f32 v33, 0x3f5db3d7, v56
	v_fmac_f32_e32 v8, 0x3f5db3d7, v76
	v_fmac_f32_e32 v9, 0xbf5db3d7, v75
	v_fmac_f32_e32 v77, 0.5, v51
	v_dual_fmac_f32 v78, 0x3f5db3d7, v51 :: v_dual_add_f32 v51, v43, v72
	v_add_f32_e32 v53, v29, v57
	s_delay_alu instid0(VALU_DEP_2)
	v_dual_add_f32 v61, v74, v77 :: v_dual_add_f32 v62, v79, v78
	ds_store_2addr_b64 v144, v[51:52], v[61:62] offset0:104 offset1:164
	v_sub_f32_e32 v51, v43, v72
	v_mul_f32_e32 v43, 0xbf5db3d7, v40
	v_mul_f32_e32 v40, -0.5, v40
	v_sub_f32_e32 v52, v48, v73
	s_delay_alu instid0(VALU_DEP_3) | instskip(NEXT) | instid1(VALU_DEP_1)
	v_dual_sub_f32 v48, v55, v116 :: v_dual_fmac_f32 v43, -0.5, v33
	v_dual_fmac_f32 v40, 0x3f5db3d7, v33 :: v_dual_add_f32 v61, v8, v43
	s_delay_alu instid0(VALU_DEP_1)
	v_add_f32_e32 v62, v9, v40
	v_dual_sub_f32 v9, v9, v40 :: v_dual_sub_f32 v8, v8, v43
	v_dual_sub_f32 v40, v54, v63 :: v_dual_add_f32 v43, v55, v116
	ds_store_2addr_b64 v18, v[61:62], v[51:52] offset0:96 offset1:156
	v_dual_sub_f32 v51, v74, v77 :: v_dual_sub_f32 v52, v79, v78
	v_fma_f32 v43, -0.5, v43, v5
	ds_store_2addr_b64 v15, v[51:52], v[8:9] offset0:88 offset1:148
	v_dual_add_f32 v9, v5, v55 :: v_dual_add_f32 v8, v4, v54
	v_dual_add_f32 v52, v39, v58 :: v_dual_sub_f32 v55, v58, v67
	s_delay_alu instid0(VALU_DEP_2) | instskip(SKIP_1) | instid1(VALU_DEP_4)
	v_dual_fmamk_f32 v62, v40, 0x3f5db3d7, v43 :: v_dual_add_f32 v51, v9, v116
	v_add_f32_e32 v9, v58, v67
	v_add_f32_e32 v33, v8, v63
	;; [unrolled: 1-line block ×3, first 2 shown]
	v_sub_f32_e32 v54, v57, v66
	v_add_f32_e32 v53, v53, v66
	v_fmac_f32_e32 v39, -0.5, v9
	v_add_f32_e32 v9, v57, v66
	scratch_load_b32 v66, off, off offset:348 th:TH_LOAD_LU ; 4-byte Folded Reload
	v_fma_f32 v58, -0.5, v8, v4
	v_add_f32_e32 v52, v52, v67
	v_add_f32_e32 v4, v33, v53
	v_fmac_f32_e32 v29, -0.5, v9
	v_fmamk_f32 v9, v54, 0x3f5db3d7, v39
	v_fmamk_f32 v61, v48, 0xbf5db3d7, v58
	v_add_f32_e32 v5, v51, v52
	v_fmac_f32_e32 v39, 0xbf5db3d7, v54
	v_fmac_f32_e32 v58, 0x3f5db3d7, v48
	v_mul_f32_e32 v56, 0xbf5db3d7, v9
	v_mul_f32_e32 v57, 0.5, v9
	v_fmamk_f32 v9, v55, 0xbf5db3d7, v29
	v_fmac_f32_e32 v29, 0x3f5db3d7, v55
	s_delay_alu instid0(VALU_DEP_2) | instskip(NEXT) | instid1(VALU_DEP_1)
	v_dual_fmac_f32 v43, 0xbf5db3d7, v40 :: v_dual_fmac_f32 v56, 0.5, v9
	v_dual_fmac_f32 v57, 0x3f5db3d7, v9 :: v_dual_add_f32 v8, v61, v56
	s_delay_alu instid0(VALU_DEP_1)
	v_add_f32_e32 v9, v62, v57
	s_wait_loadcnt 0x0
	v_add_nc_u32_e32 v63, 0x1400, v66
	ds_store_2addr_b64 v63, v[4:5], v[8:9] offset0:80 offset1:140
	v_sub_f32_e32 v5, v51, v52
	scratch_load_b32 v52, off, off offset:352 th:TH_LOAD_LU ; 4-byte Folded Reload
	v_dual_sub_f32 v4, v33, v53 :: v_dual_mul_f32 v33, 0xbf5db3d7, v39
	v_mul_f32_e32 v39, -0.5, v39
	s_delay_alu instid0(VALU_DEP_2) | instskip(NEXT) | instid1(VALU_DEP_2)
	v_fmac_f32_e32 v33, -0.5, v29
	v_fmac_f32_e32 v39, 0x3f5db3d7, v29
	s_delay_alu instid0(VALU_DEP_2) | instskip(NEXT) | instid1(VALU_DEP_2)
	v_dual_add_f32 v8, v58, v33 :: v_dual_add_nc_u32 v29, 0x1800, v66
	v_add_f32_e32 v9, v43, v39
	ds_store_2addr_b64 v29, v[8:9], v[4:5] offset0:72 offset1:132
	v_dual_sub_f32 v4, v61, v56 :: v_dual_sub_f32 v5, v62, v57
	v_dual_sub_f32 v8, v58, v33 :: v_dual_sub_f32 v9, v43, v39
	v_sub_f32_e32 v33, v35, v46
	v_sub_f32_e32 v39, v41, v64
	ds_store_2addr_b64 v29, v[4:5], v[8:9] offset0:192 offset1:252
	v_add_f32_e32 v4, v37, v49
	v_dual_add_f32 v5, v7, v37 :: v_dual_add_f32 v8, v25, v42
	v_add_f32_e32 v9, v23, v41
	s_delay_alu instid0(VALU_DEP_3) | instskip(NEXT) | instid1(VALU_DEP_1)
	v_dual_fmac_f32 v7, -0.5, v4 :: v_dual_add_f32 v4, v6, v35
	v_dual_add_f32 v40, v9, v64 :: v_dual_add_f32 v29, v4, v46
	v_dual_add_f32 v4, v35, v46 :: v_dual_sub_f32 v35, v37, v49
	v_add_f32_e32 v37, v5, v49
	v_add_f32_e32 v5, v42, v65
	v_fmamk_f32 v49, v33, 0x3f5db3d7, v7
	s_delay_alu instid0(VALU_DEP_4)
	v_fma_f32 v6, -0.5, v4, v6
	v_fmac_f32_e32 v7, 0xbf5db3d7, v33
	v_sub_f32_e32 v33, v45, v60
	v_fmac_f32_e32 v25, -0.5, v5
	v_add_f32_e32 v5, v41, v64
	v_sub_f32_e32 v41, v42, v65
	v_add_f32_e32 v42, v8, v65
	v_fmamk_f32 v48, v35, 0xbf5db3d7, v6
	s_delay_alu instid0(VALU_DEP_4) | instskip(SKIP_3) | instid1(VALU_DEP_3)
	v_dual_add_f32 v4, v29, v40 :: v_dual_fmac_f32 v23, -0.5, v5
	v_fmamk_f32 v5, v39, 0x3f5db3d7, v25
	v_fmac_f32_e32 v25, 0xbf5db3d7, v39
	v_fmac_f32_e32 v6, 0x3f5db3d7, v35
	v_mul_f32_e32 v43, 0xbf5db3d7, v5
	v_dual_mul_f32 v46, 0.5, v5 :: v_dual_fmamk_f32 v5, v41, 0xbf5db3d7, v23
	v_fmac_f32_e32 v23, 0x3f5db3d7, v41
	s_delay_alu instid0(VALU_DEP_2) | instskip(NEXT) | instid1(VALU_DEP_3)
	v_fmac_f32_e32 v43, 0.5, v5
	v_dual_fmac_f32 v46, 0x3f5db3d7, v5 :: v_dual_add_f32 v5, v37, v42
	s_delay_alu instid0(VALU_DEP_1)
	v_dual_add_f32 v8, v48, v43 :: v_dual_add_f32 v9, v49, v46
	s_wait_loadcnt 0x0
	v_add_nc_u32_e32 v51, 0x2000, v52
	ds_store_2addr_b64 v51, v[4:5], v[8:9] offset0:56 offset1:116
	v_sub_f32_e32 v5, v37, v42
	scratch_load_b32 v42, off, off offset:372 th:TH_LOAD_LU ; 4-byte Folded Reload
	v_dual_sub_f32 v4, v29, v40 :: v_dual_mul_f32 v29, 0xbf5db3d7, v25
	v_mul_f32_e32 v25, -0.5, v25
	s_delay_alu instid0(VALU_DEP_2) | instskip(NEXT) | instid1(VALU_DEP_1)
	v_fmac_f32_e32 v29, -0.5, v23
	v_dual_fmac_f32 v25, 0x3f5db3d7, v23 :: v_dual_add_f32 v8, v6, v29
	s_delay_alu instid0(VALU_DEP_1)
	v_add_f32_e32 v9, v7, v25
	s_wait_loadcnt 0x0
	v_add_nc_u32_e32 v41, 0x2800, v42
	ds_store_2addr_b64 v51, v[8:9], v[4:5] offset0:176 offset1:236
	v_sub_f32_e32 v5, v7, v25
	v_add_f32_e32 v25, v22, v45
	v_sub_f32_e32 v4, v6, v29
	v_dual_sub_f32 v9, v34, v47 :: v_dual_add_nc_u32 v8, 0x2800, v52
	s_delay_alu instid0(VALU_DEP_3)
	v_dual_sub_f32 v6, v48, v43 :: v_dual_add_f32 v25, v25, v60
	v_sub_f32_e32 v7, v49, v46
	v_add_f32_e32 v29, v21, v44
	ds_store_2addr_b64 v8, v[6:7], v[4:5] offset0:40 offset1:100
	v_add_f32_e32 v5, v1, v34
	v_dual_sub_f32 v7, v32, v50 :: v_dual_add_f32 v8, v34, v47
	v_add_f32_e32 v29, v29, v59
	s_delay_alu instid0(VALU_DEP_3) | instskip(SKIP_1) | instid1(VALU_DEP_1)
	v_add_f32_e32 v23, v5, v47
	v_add_f32_e32 v5, v45, v60
	v_dual_fmac_f32 v22, -0.5, v5 :: v_dual_add_f32 v5, v44, v59
	s_delay_alu instid0(VALU_DEP_1) | instskip(NEXT) | instid1(VALU_DEP_1)
	v_dual_fmac_f32 v21, -0.5, v5 :: v_dual_add_f32 v4, v0, v32
	v_add_f32_e32 v6, v4, v50
	v_add_f32_e32 v4, v32, v50
	v_sub_f32_e32 v32, v44, v59
	s_delay_alu instid0(VALU_DEP_2) | instskip(NEXT) | instid1(VALU_DEP_2)
	v_fma_f32 v37, -0.5, v4, v0
	v_fmamk_f32 v5, v32, 0x3f5db3d7, v22
	s_delay_alu instid0(VALU_DEP_2)
	v_dual_fmac_f32 v22, 0xbf5db3d7, v32 :: v_dual_fmamk_f32 v39, v9, 0xbf5db3d7, v37
	v_fmac_f32_e32 v37, 0x3f5db3d7, v9
	v_add_nc_u32_e32 v9, 0x3000, v42
	v_fma_f32 v8, -0.5, v8, v1
	v_mul_f32_e32 v35, 0.5, v5
	v_add_f32_e32 v1, v23, v25
	s_delay_alu instid0(VALU_DEP_3) | instskip(SKIP_3) | instid1(VALU_DEP_2)
	v_fmamk_f32 v40, v7, 0x3f5db3d7, v8
	v_fmac_f32_e32 v8, 0xbf5db3d7, v7
	v_dual_mul_f32 v34, 0xbf5db3d7, v5 :: v_dual_fmamk_f32 v5, v33, 0xbf5db3d7, v21
	v_fmac_f32_e32 v21, 0x3f5db3d7, v33
	v_dual_mul_f32 v7, -0.5, v22 :: v_dual_fmac_f32 v34, 0.5, v5
	v_fmac_f32_e32 v35, 0x3f5db3d7, v5
	s_delay_alu instid0(VALU_DEP_2) | instskip(SKIP_1) | instid1(VALU_DEP_3)
	v_fmac_f32_e32 v7, 0x3f5db3d7, v21
	v_add_f32_e32 v0, v6, v29
	v_dual_add_f32 v4, v39, v34 :: v_dual_add_f32 v5, v40, v35
	ds_store_2addr_b64 v41, v[0:1], v[4:5] offset0:160 offset1:220
	v_sub_f32_e32 v0, v6, v29
	v_dual_mul_f32 v6, 0xbf5db3d7, v22 :: v_dual_sub_f32 v1, v23, v25
	s_delay_alu instid0(VALU_DEP_1) | instskip(SKIP_1) | instid1(VALU_DEP_2)
	v_dual_sub_f32 v23, v28, v38 :: v_dual_fmac_f32 v6, -0.5, v21
	v_sub_f32_e32 v21, v27, v36
	v_dual_add_f32 v5, v8, v7 :: v_dual_add_f32 v4, v37, v6
	ds_store_2addr_b64 v9, v[4:5], v[0:1] offset0:24 offset1:84
	v_dual_sub_f32 v1, v40, v35 :: v_dual_sub_f32 v4, v37, v6
	v_sub_f32_e32 v5, v8, v7
	v_sub_f32_e32 v7, v24, v30
	;; [unrolled: 1-line block ×3, first 2 shown]
	ds_store_2addr_b64 v9, v[0:1], v[4:5] offset0:144 offset1:204
	v_dual_add_f32 v1, v3, v26 :: v_dual_add_f32 v4, v20, v28
	v_add_f32_e32 v5, v19, v27
	s_delay_alu instid0(VALU_DEP_2) | instskip(SKIP_1) | instid1(VALU_DEP_1)
	v_add_f32_e32 v9, v1, v31
	v_dual_add_f32 v1, v28, v38 :: v_dual_add_f32 v0, v26, v31
	v_dual_fmac_f32 v20, -0.5, v1 :: v_dual_add_f32 v1, v27, v36
	s_delay_alu instid0(VALU_DEP_2) | instskip(NEXT) | instid1(VALU_DEP_2)
	v_fmac_f32_e32 v3, -0.5, v0
	v_fmac_f32_e32 v19, -0.5, v1
	s_delay_alu instid0(VALU_DEP_2) | instskip(SKIP_2) | instid1(VALU_DEP_3)
	v_dual_fmamk_f32 v1, v21, 0x3f5db3d7, v20 :: v_dual_fmamk_f32 v28, v7, 0x3f5db3d7, v3
	v_sub_f32_e32 v8, v26, v31
	v_fmac_f32_e32 v3, 0xbf5db3d7, v7
	v_mul_f32_e32 v25, 0xbf5db3d7, v1
	v_dual_mul_f32 v26, 0.5, v1 :: v_dual_fmamk_f32 v1, v23, 0xbf5db3d7, v19
	v_dual_fmac_f32 v19, 0x3f5db3d7, v23 :: v_dual_add_f32 v22, v5, v36
	v_fmac_f32_e32 v20, 0xbf5db3d7, v21
	s_delay_alu instid0(VALU_DEP_3) | instskip(SKIP_1) | instid1(VALU_DEP_3)
	v_fmac_f32_e32 v26, 0x3f5db3d7, v1
	v_fmac_f32_e32 v25, 0.5, v1
	v_mul_f32_e32 v7, -0.5, v20
	s_delay_alu instid0(VALU_DEP_3) | instskip(NEXT) | instid1(VALU_DEP_1)
	v_dual_add_f32 v5, v28, v26 :: v_dual_add_f32 v0, v2, v24
	v_dual_fmac_f32 v7, 0x3f5db3d7, v19 :: v_dual_add_f32 v6, v0, v30
	v_add_f32_e32 v0, v24, v30
	scratch_load_b32 v30, off, off offset:384 th:TH_LOAD_LU ; 4-byte Folded Reload
	v_fma_f32 v2, -0.5, v0, v2
	s_delay_alu instid0(VALU_DEP_1) | instskip(SKIP_4) | instid1(VALU_DEP_1)
	v_dual_add_f32 v0, v6, v22 :: v_dual_fmamk_f32 v27, v8, 0xbf5db3d7, v2
	v_fmac_f32_e32 v2, 0x3f5db3d7, v8
	s_wait_loadcnt 0x0
	v_add_nc_u32_e32 v29, 0x3800, v30
	v_add_f32_e32 v24, v4, v38
	v_dual_add_f32 v4, v27, v25 :: v_dual_add_f32 v1, v9, v24
	ds_store_2addr_b64 v29, v[0:1], v[4:5] offset0:8 offset1:68
	v_dual_sub_f32 v1, v9, v24 :: v_dual_sub_f32 v0, v6, v22
	v_dual_mul_f32 v6, 0xbf5db3d7, v20 :: v_dual_add_f32 v5, v3, v7
	s_delay_alu instid0(VALU_DEP_1) | instskip(NEXT) | instid1(VALU_DEP_1)
	v_fmac_f32_e32 v6, -0.5, v19
	v_add_f32_e32 v4, v2, v6
	ds_store_2addr_b64 v29, v[4:5], v[0:1] offset0:128 offset1:188
	v_dual_sub_f32 v1, v3, v7 :: v_dual_sub_f32 v0, v2, v6
	v_dual_sub_f32 v2, v27, v25 :: v_dual_sub_f32 v3, v28, v26
	v_add_nc_u32_e32 v4, 0x3c00, v30
	ds_store_2addr_b64 v4, v[2:3], v[0:1] offset0:120 offset1:180
	global_wb scope:SCOPE_SE
	s_wait_dscnt 0x0
	s_barrier_signal -1
	s_barrier_wait -1
	global_inv scope:SCOPE_SE
	ds_load_2addr_b64 v[0:3], v144 offset0:104 offset1:164
	ds_load_2addr_b64 v[4:7], v145 offset0:80 offset1:140
	s_wait_dscnt 0x1
	v_mul_f32_e32 v74, v69, v1
	v_mul_f32_e32 v24, v121, v3
	s_wait_dscnt 0x0
	v_mul_f32_e32 v66, v71, v5
	s_delay_alu instid0(VALU_DEP_3) | instskip(SKIP_2) | instid1(VALU_DEP_4)
	v_dual_mul_f32 v41, v123, v7 :: v_dual_fmac_f32 v74, v68, v0
	v_mul_f32_e32 v0, v69, v0
	v_fmac_f32_e32 v24, v120, v2
	v_fmac_f32_e32 v66, v70, v4
	s_delay_alu instid0(VALU_DEP_4) | instskip(NEXT) | instid1(VALU_DEP_4)
	v_fmac_f32_e32 v41, v122, v6
	v_fma_f32 v68, v68, v1, -v0
	v_mul_f32_e32 v0, v71, v4
	s_delay_alu instid0(VALU_DEP_1) | instskip(SKIP_1) | instid1(VALU_DEP_1)
	v_fma_f32 v67, v70, v5, -v0
	v_mul_f32_e32 v0, v121, v2
	v_fma_f32 v29, v120, v3, -v0
	v_mul_f32_e32 v0, v123, v6
	s_delay_alu instid0(VALU_DEP_1)
	v_fma_f32 v46, v122, v7, -v0
	ds_load_2addr_b64 v[0:3], v10 offset0:56 offset1:116
	ds_load_2addr_b64 v[4:7], v11 offset0:160 offset1:220
	s_wait_dscnt 0x1
	v_mul_f32_e32 v69, v133, v1
	v_mul_f32_e32 v49, v125, v3
	s_wait_dscnt 0x0
	v_mul_f32_e32 v73, v135, v5
	s_delay_alu instid0(VALU_DEP_3) | instskip(NEXT) | instid1(VALU_DEP_3)
	v_dual_mul_f32 v52, v127, v7 :: v_dual_fmac_f32 v69, v132, v0
	v_dual_mul_f32 v0, v133, v0 :: v_dual_fmac_f32 v49, v124, v2
	s_delay_alu instid0(VALU_DEP_3) | instskip(NEXT) | instid1(VALU_DEP_3)
	v_fmac_f32_e32 v73, v134, v4
	v_fmac_f32_e32 v52, v126, v6
	s_delay_alu instid0(VALU_DEP_3) | instskip(SKIP_1) | instid1(VALU_DEP_1)
	v_fma_f32 v72, v132, v1, -v0
	v_mul_f32_e32 v0, v135, v4
	v_fma_f32 v75, v134, v5, -v0
	v_mul_f32_e32 v0, v125, v2
	s_delay_alu instid0(VALU_DEP_1) | instskip(SKIP_1) | instid1(VALU_DEP_1)
	v_fma_f32 v50, v124, v3, -v0
	v_mul_f32_e32 v0, v127, v6
	v_fma_f32 v54, v126, v7, -v0
	ds_load_2addr_b64 v[0:3], v18 offset0:96 offset1:156
	ds_load_2addr_b64 v[4:7], v16 offset0:72 offset1:132
	s_wait_dscnt 0x1
	v_mul_f32_e32 v38, v129, v1
	s_wait_dscnt 0x0
	v_dual_mul_f32 v8, v101, v3 :: v_dual_mul_f32 v39, v131, v5
	s_delay_alu instid0(VALU_DEP_2) | instskip(SKIP_1) | instid1(VALU_DEP_3)
	v_dual_mul_f32 v21, v103, v7 :: v_dual_fmac_f32 v38, v128, v0
	v_mul_f32_e32 v0, v129, v0
	v_dual_fmac_f32 v8, v100, v2 :: v_dual_fmac_f32 v39, v130, v4
	s_delay_alu instid0(VALU_DEP_3) | instskip(NEXT) | instid1(VALU_DEP_3)
	v_fmac_f32_e32 v21, v102, v6
	v_fma_f32 v42, v128, v1, -v0
	v_mul_f32_e32 v0, v131, v4
	s_delay_alu instid0(VALU_DEP_1) | instskip(SKIP_1) | instid1(VALU_DEP_1)
	v_fma_f32 v40, v130, v5, -v0
	v_mul_f32_e32 v0, v101, v2
	v_fma_f32 v9, v100, v3, -v0
	v_mul_f32_e32 v0, v103, v6
	s_delay_alu instid0(VALU_DEP_1)
	v_fma_f32 v25, v102, v7, -v0
	ds_load_2addr_b64 v[0:3], v10 offset0:176 offset1:236
	ds_load_2addr_b64 v[4:7], v12 offset0:24 offset1:84
	s_wait_dscnt 0x1
	v_mul_f32_e32 v60, v113, v1
	v_mul_f32_e32 v27, v105, v3
	s_wait_dscnt 0x0
	v_mul_f32_e32 v53, v115, v5
	v_mul_f32_e32 v30, v107, v7
	v_fmac_f32_e32 v60, v112, v0
	v_dual_mul_f32 v0, v113, v0 :: v_dual_fmac_f32 v27, v104, v2
	s_delay_alu instid0(VALU_DEP_4) | instskip(NEXT) | instid1(VALU_DEP_4)
	v_fmac_f32_e32 v53, v114, v4
	v_fmac_f32_e32 v30, v106, v6
	s_delay_alu instid0(VALU_DEP_3) | instskip(SKIP_1) | instid1(VALU_DEP_4)
	v_fma_f32 v61, v112, v1, -v0
	v_mul_f32_e32 v0, v115, v4
	v_sub_f32_e32 v79, v39, v53
	s_delay_alu instid0(VALU_DEP_2) | instskip(SKIP_1) | instid1(VALU_DEP_2)
	v_fma_f32 v55, v114, v5, -v0
	v_mul_f32_e32 v0, v105, v2
	v_sub_f32_e32 v78, v40, v55
	s_delay_alu instid0(VALU_DEP_2) | instskip(SKIP_1) | instid1(VALU_DEP_1)
	v_fma_f32 v28, v104, v3, -v0
	v_mul_f32_e32 v0, v107, v6
	v_fma_f32 v35, v106, v7, -v0
	ds_load_2addr_b64 v[0:3], v15 offset0:88 offset1:148
	ds_load_2addr_b64 v[4:7], v16 offset0:192 offset1:252
	s_wait_dscnt 0x1
	v_mul_f32_e32 v19, v109, v1
	v_mul_f32_e32 v18, v85, v3
	s_wait_dscnt 0x0
	v_mul_f32_e32 v32, v111, v5
	s_delay_alu instid0(VALU_DEP_3) | instskip(SKIP_2) | instid1(VALU_DEP_4)
	v_dual_mul_f32 v26, v87, v7 :: v_dual_fmac_f32 v19, v108, v0
	v_mul_f32_e32 v0, v109, v0
	v_fmac_f32_e32 v18, v84, v2
	v_fmac_f32_e32 v32, v110, v4
	s_delay_alu instid0(VALU_DEP_4) | instskip(NEXT) | instid1(VALU_DEP_4)
	v_fmac_f32_e32 v26, v86, v6
	v_fma_f32 v22, v108, v1, -v0
	v_mul_f32_e32 v0, v111, v4
	s_delay_alu instid0(VALU_DEP_1) | instskip(SKIP_1) | instid1(VALU_DEP_1)
	v_fma_f32 v37, v110, v5, -v0
	v_mul_f32_e32 v0, v85, v2
	v_fma_f32 v20, v84, v3, -v0
	v_mul_f32_e32 v0, v87, v6
	s_delay_alu instid0(VALU_DEP_1)
	v_fma_f32 v23, v86, v7, -v0
	ds_load_2addr_b64 v[0:3], v11 offset0:40 offset1:100
	ds_load_2addr_b64 v[4:7], v12 offset0:144 offset1:204
	s_wait_dscnt 0x1
	v_mul_f32_e32 v47, v97, v1
	s_wait_dscnt 0x0
	v_dual_mul_f32 v48, v99, v5 :: v_dual_mul_f32 v33, v89, v3
	s_delay_alu instid0(VALU_DEP_2) | instskip(SKIP_1) | instid1(VALU_DEP_3)
	v_fmac_f32_e32 v47, v96, v0
	v_mul_f32_e32 v0, v97, v0
	v_dual_fmac_f32 v48, v98, v4 :: v_dual_fmac_f32 v33, v88, v2
	s_delay_alu instid0(VALU_DEP_2) | instskip(SKIP_1) | instid1(VALU_DEP_1)
	v_fma_f32 v45, v96, v1, -v0
	v_mul_f32_e32 v0, v99, v4
	v_fma_f32 v51, v98, v5, -v0
	scratch_load_b64 v[4:5], off, off offset:356 th:TH_LOAD_LU ; 8-byte Folded Reload
	v_mul_f32_e32 v0, v89, v2
	s_delay_alu instid0(VALU_DEP_1) | instskip(SKIP_1) | instid1(VALU_DEP_1)
	v_fma_f32 v34, v88, v3, -v0
	v_mul_f32_e32 v0, v91, v6
	v_fma_f32 v31, v90, v7, -v0
	ds_load_2addr_b64 v[0:3], v13 offset0:8 offset1:68
	s_wait_loadcnt_dscnt 0x0
	v_mul_f32_e32 v76, v5, v1
	s_delay_alu instid0(VALU_DEP_1) | instskip(SKIP_1) | instid1(VALU_DEP_1)
	v_fmac_f32_e32 v76, v4, v0
	v_mul_f32_e32 v0, v5, v0
	v_fma_f32 v77, v4, v1, -v0
	scratch_load_b64 v[4:5], off, off offset:364 th:TH_LOAD_LU ; 8-byte Folded Reload
	s_wait_loadcnt 0x0
	v_mul_f32_e32 v65, v5, v3
	v_mul_f32_e32 v0, v5, v2
	s_delay_alu instid0(VALU_DEP_2) | instskip(NEXT) | instid1(VALU_DEP_2)
	v_fmac_f32_e32 v65, v4, v2
	v_fma_f32 v64, v4, v3, -v0
	ds_load_2addr_b64 v[0:3], v13 offset0:128 offset1:188
	s_wait_dscnt 0x0
	v_dual_mul_f32 v62, v246, v1 :: v_dual_mul_f32 v59, v248, v3
	s_delay_alu instid0(VALU_DEP_1) | instskip(NEXT) | instid1(VALU_DEP_2)
	v_fmac_f32_e32 v62, v245, v0
	v_dual_mul_f32 v0, v246, v0 :: v_dual_fmac_f32 v59, v247, v2
	s_delay_alu instid0(VALU_DEP_1) | instskip(SKIP_1) | instid1(VALU_DEP_1)
	v_fma_f32 v63, v245, v1, -v0
	v_mul_f32_e32 v0, v248, v2
	v_fma_f32 v58, v247, v3, -v0
	ds_load_2addr_b64 v[0:3], v14 offset0:120 offset1:180
	s_wait_dscnt 0x0
	v_mul_f32_e32 v57, v221, v1
	v_mul_f32_e32 v43, v250, v3
	s_delay_alu instid0(VALU_DEP_2) | instskip(SKIP_1) | instid1(VALU_DEP_3)
	v_fmac_f32_e32 v57, v220, v0
	v_mul_f32_e32 v0, v221, v0
	v_fmac_f32_e32 v43, v249, v2
	s_delay_alu instid0(VALU_DEP_2) | instskip(SKIP_1) | instid1(VALU_DEP_1)
	v_fma_f32 v56, v220, v1, -v0
	v_mul_f32_e32 v0, v250, v2
	v_fma_f32 v44, v249, v3, -v0
	ds_load_2addr_b64 v[2:5], v255 offset1:60
	v_mul_f32_e32 v36, v91, v7
	s_delay_alu instid0(VALU_DEP_1) | instskip(SKIP_1) | instid1(VALU_DEP_1)
	v_fmac_f32_e32 v36, v90, v6
	v_add_f32_e32 v6, v74, v69
	v_add_f32_e32 v70, v6, v76
	;; [unrolled: 1-line block ×3, first 2 shown]
	s_delay_alu instid0(VALU_DEP_1) | instskip(SKIP_2) | instid1(VALU_DEP_1)
	v_add_f32_e32 v71, v6, v77
	s_wait_dscnt 0x0
	v_dual_add_f32 v0, v2, v66 :: v_dual_add_f32 v1, v3, v67
	v_dual_add_f32 v0, v0, v73 :: v_dual_add_f32 v1, v1, v75
	s_delay_alu instid0(VALU_DEP_1)
	v_dual_add_f32 v6, v0, v70 :: v_dual_add_f32 v7, v1, v71
	v_dual_sub_f32 v70, v0, v70 :: v_dual_sub_f32 v71, v1, v71
	v_add_f32_e32 v0, v67, v75
	v_sub_f32_e32 v1, v67, v75
	v_add_f32_e32 v67, v72, v77
	v_add_f32_e32 v75, v66, v73
	v_sub_f32_e32 v77, v72, v77
	v_fma_f32 v0, -0.5, v0, v3
	s_delay_alu instid0(VALU_DEP_4) | instskip(SKIP_2) | instid1(VALU_DEP_3)
	v_dual_fmac_f32 v68, -0.5, v67 :: v_dual_add_f32 v67, v69, v76
	v_dual_sub_f32 v69, v69, v76 :: v_dual_sub_f32 v76, v66, v73
	v_fma_f32 v2, -0.5, v75, v2
	v_fmac_f32_e32 v74, -0.5, v67
	s_delay_alu instid0(VALU_DEP_3) | instskip(SKIP_1) | instid1(VALU_DEP_4)
	v_fmamk_f32 v66, v69, 0x3f5db3d7, v68
	v_fmac_f32_e32 v68, 0xbf5db3d7, v69
	v_fmamk_f32 v3, v1, 0xbf5db3d7, v2
	v_fmac_f32_e32 v2, 0x3f5db3d7, v1
	v_fmamk_f32 v75, v76, 0x3f5db3d7, v0
	v_mul_f32_e32 v72, 0xbf5db3d7, v66
	v_dual_mul_f32 v73, 0.5, v66 :: v_dual_fmamk_f32 v66, v77, 0xbf5db3d7, v74
	v_fmac_f32_e32 v74, 0x3f5db3d7, v77
	v_mul_f32_e32 v1, 0xbf5db3d7, v68
	v_fmac_f32_e32 v0, 0xbf5db3d7, v76
	s_delay_alu instid0(VALU_DEP_4) | instskip(SKIP_1) | instid1(VALU_DEP_2)
	v_fmac_f32_e32 v72, 0.5, v66
	v_fmac_f32_e32 v73, 0x3f5db3d7, v66
	v_dual_fmac_f32 v1, -0.5, v74 :: v_dual_add_f32 v66, v3, v72
	v_sub_f32_e32 v72, v3, v72
	v_mul_f32_e32 v3, -0.5, v68
	s_delay_alu instid0(VALU_DEP_4) | instskip(NEXT) | instid1(VALU_DEP_4)
	v_add_f32_e32 v67, v75, v73
	v_add_f32_e32 v68, v2, v1
	v_sub_f32_e32 v73, v75, v73
	s_delay_alu instid0(VALU_DEP_4) | instskip(NEXT) | instid1(VALU_DEP_1)
	v_dual_fmac_f32 v3, 0x3f5db3d7, v74 :: v_dual_sub_f32 v74, v2, v1
	v_add_f32_e32 v69, v0, v3
	v_sub_f32_e32 v75, v0, v3
	ds_load_2addr_b64 v[0:3], v255 offset0:120 offset1:180
	ds_store_b64 v255, v[66:67] offset:2880
	ds_store_b64 v255, v[68:69] offset:5760
	ds_load_2addr_b64 v[66:69], v17 offset0:112 offset1:172
	ds_store_b64 v255, v[70:71] offset:8640
	ds_store_b64 v255, v[72:73] offset:11520
	;; [unrolled: 1-line block ×3, first 2 shown]
	v_add_f32_e32 v70, v4, v41
	s_delay_alu instid0(VALU_DEP_1) | instskip(SKIP_1) | instid1(VALU_DEP_1)
	v_add_f32_e32 v72, v70, v52
	v_add_f32_e32 v70, v5, v46
	v_dual_add_f32 v73, v70, v54 :: v_dual_add_f32 v70, v24, v49
	s_delay_alu instid0(VALU_DEP_1) | instskip(SKIP_1) | instid1(VALU_DEP_1)
	v_add_f32_e32 v74, v70, v65
	v_add_f32_e32 v70, v29, v50
	v_dual_add_f32 v75, v70, v64 :: v_dual_add_f32 v70, v72, v74
	s_delay_alu instid0(VALU_DEP_1)
	v_add_f32_e32 v71, v73, v75
	ds_store_2addr_b64 v255, v[6:7], v[70:71] offset1:60
	v_dual_sub_f32 v6, v72, v74 :: v_dual_sub_f32 v7, v73, v75
	v_add_f32_e32 v70, v42, v61
	v_add_f32_e32 v71, v38, v60
	ds_store_b64 v255, v[6:7] offset:9120
	v_add_f32_e32 v6, v46, v54
	v_sub_f32_e32 v46, v46, v54
	v_sub_f32_e32 v54, v49, v65
	v_add_f32_e32 v7, v41, v52
	v_sub_f32_e32 v41, v41, v52
	v_dual_fmac_f32 v5, -0.5, v6 :: v_dual_add_f32 v6, v50, v64
	v_sub_f32_e32 v52, v50, v64
	s_delay_alu instid0(VALU_DEP_4) | instskip(NEXT) | instid1(VALU_DEP_3)
	v_fma_f32 v4, -0.5, v7, v4
	v_fmamk_f32 v75, v41, 0x3f5db3d7, v5
	s_delay_alu instid0(VALU_DEP_4) | instskip(NEXT) | instid1(VALU_DEP_3)
	v_dual_fmac_f32 v29, -0.5, v6 :: v_dual_add_f32 v6, v49, v65
	v_dual_add_f32 v49, v39, v53 :: v_dual_fmamk_f32 v74, v46, 0xbf5db3d7, v4
	v_fmac_f32_e32 v4, 0x3f5db3d7, v46
	s_delay_alu instid0(VALU_DEP_3) | instskip(NEXT) | instid1(VALU_DEP_4)
	v_dual_fmac_f32 v5, 0xbf5db3d7, v41 :: v_dual_fmac_f32 v24, -0.5, v6
	v_fmamk_f32 v6, v54, 0x3f5db3d7, v29
	s_wait_dscnt 0x8
	v_fma_f32 v76, -0.5, v49, v0
	v_add_f32_e32 v49, v40, v55
	v_dual_fmac_f32 v29, 0xbf5db3d7, v54 :: v_dual_add_f32 v0, v0, v39
	v_mul_f32_e32 v64, 0xbf5db3d7, v6
	v_dual_mul_f32 v65, 0.5, v6 :: v_dual_fmamk_f32 v6, v52, 0xbf5db3d7, v24
	s_delay_alu instid0(VALU_DEP_4)
	v_fma_f32 v77, -0.5, v49, v1
	v_fmamk_f32 v80, v78, 0xbf5db3d7, v76
	v_fmac_f32_e32 v24, 0x3f5db3d7, v52
	v_mul_f32_e32 v46, 0xbf5db3d7, v29
	v_fmac_f32_e32 v64, 0.5, v6
	v_dual_fmac_f32 v65, 0x3f5db3d7, v6 :: v_dual_add_f32 v6, v61, v63
	v_sub_f32_e32 v61, v61, v63
	v_fmamk_f32 v81, v79, 0x3f5db3d7, v77
	v_mul_f32_e32 v29, -0.5, v29
	s_delay_alu instid0(VALU_DEP_4) | instskip(SKIP_4) | instid1(VALU_DEP_4)
	v_dual_add_f32 v7, v75, v65 :: v_dual_fmac_f32 v42, -0.5, v6
	v_add_f32_e32 v6, v60, v62
	v_sub_f32_e32 v60, v60, v62
	v_fmac_f32_e32 v46, -0.5, v24
	v_dual_fmac_f32 v29, 0x3f5db3d7, v24 :: v_dual_fmac_f32 v76, 0x3f5db3d7, v78
	v_fmac_f32_e32 v38, -0.5, v6
	s_delay_alu instid0(VALU_DEP_4) | instskip(SKIP_1) | instid1(VALU_DEP_2)
	v_fmamk_f32 v6, v60, 0x3f5db3d7, v42
	v_dual_fmac_f32 v42, 0xbf5db3d7, v60 :: v_dual_fmac_f32 v77, 0xbf5db3d7, v79
	v_mul_f32_e32 v72, 0xbf5db3d7, v6
	s_delay_alu instid0(VALU_DEP_4) | instskip(SKIP_1) | instid1(VALU_DEP_4)
	v_dual_mul_f32 v73, 0.5, v6 :: v_dual_fmamk_f32 v6, v61, 0xbf5db3d7, v38
	v_fmac_f32_e32 v38, 0x3f5db3d7, v61
	v_mul_f32_e32 v24, 0xbf5db3d7, v42
	s_delay_alu instid0(VALU_DEP_3) | instskip(NEXT) | instid1(VALU_DEP_4)
	v_fmac_f32_e32 v72, 0.5, v6
	v_dual_fmac_f32 v73, 0x3f5db3d7, v6 :: v_dual_add_f32 v6, v74, v64
	s_delay_alu instid0(VALU_DEP_2) | instskip(NEXT) | instid1(VALU_DEP_1)
	v_dual_fmac_f32 v24, -0.5, v38 :: v_dual_add_f32 v49, v80, v72
	v_dual_add_f32 v50, v81, v73 :: v_dual_add_f32 v41, v76, v24
	ds_store_2addr_b64 v144, v[6:7], v[49:50] offset0:164 offset1:224
	v_dual_mul_f32 v49, -0.5, v42 :: v_dual_add_f32 v50, v70, v63
	v_dual_add_f32 v6, v4, v46 :: v_dual_add_f32 v7, v5, v29
	s_delay_alu instid0(VALU_DEP_2) | instskip(SKIP_2) | instid1(VALU_DEP_2)
	v_dual_fmac_f32 v49, 0x3f5db3d7, v38 :: v_dual_add_f32 v38, v0, v53
	v_add_f32_e32 v0, v1, v40
	v_add_f32_e32 v40, v71, v62
	v_dual_add_f32 v42, v77, v49 :: v_dual_add_f32 v39, v0, v55
	s_delay_alu instid0(VALU_DEP_2)
	v_sub_f32_e32 v0, v38, v40
	ds_store_2addr_b64 v16, v[6:7], v[41:42] offset0:12 offset1:72
	v_dual_sub_f32 v6, v74, v64 :: v_dual_sub_f32 v1, v39, v50
	v_sub_f32_e32 v7, v75, v65
	v_dual_sub_f32 v41, v80, v72 :: v_dual_sub_f32 v42, v81, v73
	ds_store_b64 v255, v[0:1] offset:9600
	v_dual_sub_f32 v1, v5, v29 :: v_dual_add_nc_u32 v0, 0x2c00, v255
	v_sub_f32_e32 v5, v77, v49
	ds_store_2addr_b64 v0, v[6:7], v[41:42] offset0:92 offset1:152
	v_sub_f32_e32 v0, v4, v46
	v_sub_f32_e32 v4, v76, v24
	ds_store_2addr_b64 v13, v[0:1], v[4:5] offset0:68 offset1:128
	v_add_f32_e32 v4, v2, v21
	v_dual_add_f32 v0, v38, v40 :: v_dual_add_f32 v1, v39, v50
	v_add_nc_u32_e32 v38, 0x2400, v255
	s_delay_alu instid0(VALU_DEP_3) | instskip(SKIP_1) | instid1(VALU_DEP_1)
	v_add_f32_e32 v6, v4, v30
	v_add_f32_e32 v4, v3, v25
	;; [unrolled: 1-line block ×4, first 2 shown]
	s_delay_alu instid0(VALU_DEP_1) | instskip(SKIP_1) | instid1(VALU_DEP_1)
	v_add_f32_e32 v24, v4, v59
	v_add_f32_e32 v4, v9, v28
	v_dual_add_f32 v29, v4, v58 :: v_dual_add_f32 v4, v6, v24
	s_delay_alu instid0(VALU_DEP_1) | instskip(SKIP_4) | instid1(VALU_DEP_2)
	v_add_f32_e32 v5, v7, v29
	ds_store_2addr_b64 v255, v[0:1], v[4:5] offset0:120 offset1:180
	s_wait_dscnt 0xb
	v_add_f32_e32 v4, v66, v32
	v_dual_sub_f32 v0, v6, v24 :: v_dual_sub_f32 v1, v7, v29
	v_add_f32_e32 v6, v4, v48
	v_add_f32_e32 v4, v67, v37
	s_delay_alu instid0(VALU_DEP_1) | instskip(SKIP_1) | instid1(VALU_DEP_1)
	v_add_f32_e32 v7, v4, v51
	v_add_f32_e32 v4, v19, v47
	v_add_f32_e32 v24, v4, v57
	v_add_f32_e32 v4, v22, v45
	s_delay_alu instid0(VALU_DEP_1) | instskip(NEXT) | instid1(VALU_DEP_1)
	v_add_f32_e32 v29, v4, v56
	v_dual_sub_f32 v4, v6, v24 :: v_dual_sub_f32 v5, v7, v29
	ds_store_2addr_b64 v38, v[0:1], v[4:5] offset0:108 offset1:168
	v_add_f32_e32 v4, v68, v26
	v_dual_add_f32 v0, v6, v24 :: v_dual_add_f32 v1, v7, v29
	v_sub_f32_e32 v38, v45, v56
	s_delay_alu instid0(VALU_DEP_3) | instskip(SKIP_1) | instid1(VALU_DEP_1)
	v_add_f32_e32 v6, v4, v36
	v_add_f32_e32 v4, v69, v23
	v_dual_add_f32 v7, v4, v31 :: v_dual_add_f32 v4, v18, v33
	s_delay_alu instid0(VALU_DEP_1) | instskip(SKIP_1) | instid1(VALU_DEP_1)
	v_add_f32_e32 v24, v4, v43
	v_add_f32_e32 v4, v20, v34
	v_add_f32_e32 v29, v4, v44
	s_delay_alu instid0(VALU_DEP_1)
	v_dual_add_f32 v4, v6, v24 :: v_dual_add_f32 v5, v7, v29
	ds_store_2addr_b64 v17, v[0:1], v[4:5] offset0:112 offset1:172
	v_add_f32_e32 v0, v25, v35
	v_sub_f32_e32 v17, v25, v35
	v_sub_f32_e32 v25, v27, v59
	v_add_f32_e32 v1, v21, v30
	v_sub_f32_e32 v21, v21, v30
	v_dual_fmac_f32 v3, -0.5, v0 :: v_dual_add_f32 v0, v28, v58
	v_add_f32_e32 v4, v45, v56
	v_sub_f32_e32 v35, v37, v51
	v_add_f32_e32 v5, v32, v48
	v_fma_f32 v2, -0.5, v1, v2
	v_dual_fmac_f32 v9, -0.5, v0 :: v_dual_add_f32 v0, v27, v59
	v_dual_sub_f32 v27, v28, v58 :: v_dual_fmac_f32 v22, -0.5, v4
	v_add_f32_e32 v4, v47, v57
	v_sub_f32_e32 v32, v32, v48
	s_delay_alu instid0(VALU_DEP_4) | instskip(SKIP_4) | instid1(VALU_DEP_4)
	v_fmac_f32_e32 v8, -0.5, v0
	v_fmamk_f32 v0, v25, 0x3f5db3d7, v9
	v_fmac_f32_e32 v9, 0xbf5db3d7, v25
	v_fmac_f32_e32 v19, -0.5, v4
	v_fma_f32 v41, -0.5, v5, v66
	v_dual_fmamk_f32 v45, v17, 0xbf5db3d7, v2 :: v_dual_mul_f32 v28, 0xbf5db3d7, v0
	v_mul_f32_e32 v30, 0.5, v0
	v_fmamk_f32 v0, v27, 0xbf5db3d7, v8
	v_fmac_f32_e32 v2, 0x3f5db3d7, v17
	v_fmac_f32_e32 v8, 0x3f5db3d7, v27
	v_mul_f32_e32 v17, 0xbf5db3d7, v9
	s_delay_alu instid0(VALU_DEP_4)
	v_dual_mul_f32 v9, -0.5, v9 :: v_dual_fmac_f32 v28, 0.5, v0
	v_fmac_f32_e32 v30, 0x3f5db3d7, v0
	v_dual_add_f32 v0, v37, v51 :: v_dual_sub_f32 v37, v47, v57
	v_fmamk_f32 v46, v21, 0x3f5db3d7, v3
	v_fmamk_f32 v47, v35, 0xbf5db3d7, v41
	v_fmac_f32_e32 v3, 0xbf5db3d7, v21
	s_delay_alu instid0(VALU_DEP_4) | instskip(SKIP_2) | instid1(VALU_DEP_3)
	v_fma_f32 v42, -0.5, v0, v67
	v_fmamk_f32 v4, v37, 0x3f5db3d7, v22
	v_dual_fmac_f32 v22, 0xbf5db3d7, v37 :: v_dual_fmac_f32 v17, -0.5, v8
	v_dual_fmac_f32 v9, 0x3f5db3d7, v8 :: v_dual_fmamk_f32 v48, v32, 0x3f5db3d7, v42
	s_delay_alu instid0(VALU_DEP_3)
	v_mul_f32_e32 v39, 0xbf5db3d7, v4
	v_mul_f32_e32 v40, 0.5, v4
	v_fmamk_f32 v4, v38, 0xbf5db3d7, v19
	v_fmac_f32_e32 v19, 0x3f5db3d7, v38
	v_mul_f32_e32 v8, 0xbf5db3d7, v22
	v_dual_mul_f32 v21, -0.5, v22 :: v_dual_add_f32 v0, v45, v28
	s_delay_alu instid0(VALU_DEP_4) | instskip(SKIP_3) | instid1(VALU_DEP_3)
	v_fmac_f32_e32 v39, 0.5, v4
	v_dual_fmac_f32 v40, 0x3f5db3d7, v4 :: v_dual_add_f32 v1, v46, v30
	v_fmac_f32_e32 v41, 0x3f5db3d7, v35
	v_fmac_f32_e32 v42, 0xbf5db3d7, v32
	v_dual_add_f32 v4, v47, v39 :: v_dual_add_f32 v5, v48, v40
	v_fmac_f32_e32 v8, -0.5, v19
	v_fmac_f32_e32 v21, 0x3f5db3d7, v19
	ds_store_2addr_b64 v15, v[0:1], v[4:5] offset0:28 offset1:88
	v_add_f32_e32 v0, v2, v17
	v_dual_add_f32 v1, v3, v9 :: v_dual_add_f32 v4, v41, v8
	v_add_f32_e32 v5, v42, v21
	ds_store_2addr_b64 v16, v[0:1], v[4:5] offset0:132 offset1:192
	v_dual_sub_f32 v0, v45, v28 :: v_dual_sub_f32 v1, v46, v30
	v_dual_sub_f32 v4, v47, v39 :: v_dual_sub_f32 v5, v48, v40
	ds_store_2addr_b64 v12, v[0:1], v[4:5] offset0:84 offset1:144
	v_sub_f32_e32 v1, v3, v9
	v_sub_f32_e32 v0, v2, v17
	v_dual_sub_f32 v2, v41, v8 :: v_dual_sub_f32 v3, v42, v21
	v_dual_sub_f32 v4, v6, v24 :: v_dual_sub_f32 v5, v7, v29
	ds_store_2addr_b64 v13, v[0:1], v[2:3] offset0:188 offset1:248
	v_add_f32_e32 v0, v23, v31
	v_sub_f32_e32 v1, v33, v43
	v_sub_f32_e32 v3, v26, v36
	v_add_f32_e32 v2, v26, v36
	s_delay_alu instid0(VALU_DEP_4) | instskip(SKIP_1) | instid1(VALU_DEP_3)
	v_fmac_f32_e32 v69, -0.5, v0
	v_add_f32_e32 v0, v34, v44
	v_fma_f32 v2, -0.5, v2, v68
	s_delay_alu instid0(VALU_DEP_2) | instskip(SKIP_2) | instid1(VALU_DEP_3)
	v_dual_fmamk_f32 v9, v3, 0x3f5db3d7, v69 :: v_dual_fmac_f32 v20, -0.5, v0
	v_add_f32_e32 v0, v33, v43
	v_fmac_f32_e32 v69, 0xbf5db3d7, v3
	v_fmamk_f32 v8, v1, 0x3f5db3d7, v20
	s_delay_alu instid0(VALU_DEP_3) | instskip(SKIP_1) | instid1(VALU_DEP_3)
	v_fmac_f32_e32 v18, -0.5, v0
	v_sub_f32_e32 v0, v34, v44
	v_dual_fmac_f32 v20, 0xbf5db3d7, v1 :: v_dual_mul_f32 v19, 0xbf5db3d7, v8
	v_mul_f32_e32 v21, 0.5, v8
	s_delay_alu instid0(VALU_DEP_3) | instskip(SKIP_1) | instid1(VALU_DEP_2)
	v_fmamk_f32 v17, v0, 0xbf5db3d7, v18
	v_fmac_f32_e32 v18, 0x3f5db3d7, v0
	v_dual_mul_f32 v0, -0.5, v20 :: v_dual_fmac_f32 v19, 0.5, v17
	s_delay_alu instid0(VALU_DEP_1) | instskip(SKIP_1) | instid1(VALU_DEP_2)
	v_dual_fmac_f32 v21, 0x3f5db3d7, v17 :: v_dual_fmac_f32 v0, 0x3f5db3d7, v18
	v_mul_f32_e32 v17, 0xbf5db3d7, v20
	v_add_f32_e32 v7, v9, v21
	s_delay_alu instid0(VALU_DEP_3) | instskip(SKIP_1) | instid1(VALU_DEP_4)
	v_add_f32_e32 v1, v69, v0
	v_dual_sub_f32 v3, v69, v0 :: v_dual_sub_f32 v0, v23, v31
	v_fmac_f32_e32 v17, -0.5, v18
	s_delay_alu instid0(VALU_DEP_2) | instskip(SKIP_1) | instid1(VALU_DEP_2)
	v_dual_sub_f32 v9, v9, v21 :: v_dual_fmamk_f32 v8, v0, 0xbf5db3d7, v2
	v_fmac_f32_e32 v2, 0x3f5db3d7, v0
	v_add_f32_e32 v6, v8, v19
	s_delay_alu instid0(VALU_DEP_2)
	v_add_f32_e32 v0, v2, v17
	v_sub_f32_e32 v8, v8, v19
	v_sub_f32_e32 v2, v2, v17
	ds_store_b64 v255, v[6:7] offset:5280
	ds_store_b64 v255, v[0:1] offset:8160
	;; [unrolled: 1-line block ×5, first 2 shown]
	global_wb scope:SCOPE_SE
	s_wait_dscnt 0x0
	s_barrier_signal -1
	s_barrier_wait -1
	global_inv scope:SCOPE_SE
	scratch_load_b64 v[5:6], off, off offset:260 th:TH_LOAD_LU ; 8-byte Folded Reload
	ds_load_2addr_b64 v[1:4], v255 offset1:60
	scratch_load_b64 v[7:8], off, off offset:244 th:TH_LOAD_LU ; 8-byte Folded Reload
	ds_load_2addr_b64 v[17:20], v144 offset0:176 offset1:236
	s_clause 0xa
	scratch_load_b64 v[31:32], off, off offset:156 th:TH_LOAD_LU
	scratch_load_b64 v[39:40], off, off offset:140 th:TH_LOAD_LU
	;; [unrolled: 1-line block ×11, first 2 shown]
	s_wait_loadcnt_dscnt 0xc01
	v_mul_f32_e32 v0, v6, v2
	s_delay_alu instid0(VALU_DEP_1) | instskip(SKIP_1) | instid1(VALU_DEP_1)
	v_fmac_f32_e32 v0, v5, v1
	v_mul_f32_e32 v1, v6, v1
	v_fma_f32 v1, v5, v2, -v1
	scratch_load_b64 v[5:6], off, off offset:252 th:TH_LOAD_LU ; 8-byte Folded Reload
	s_wait_loadcnt 0x0
	v_mul_f32_e32 v2, v6, v4
	s_delay_alu instid0(VALU_DEP_1) | instskip(SKIP_2) | instid1(VALU_DEP_1)
	v_fmac_f32_e32 v2, v5, v3
	s_wait_dscnt 0x0
	v_dual_mul_f32 v3, v6, v3 :: v_dual_mul_f32 v6, v8, v18
	v_fma_f32 v4, v5, v4, -v3
	v_mul_f32_e32 v3, v8, v17
	scratch_load_b64 v[8:9], off, off offset:236 th:TH_LOAD_LU ; 8-byte Folded Reload
	v_fmac_f32_e32 v6, v7, v17
	v_fma_f32 v7, v7, v18, -v3
	s_wait_loadcnt 0x0
	v_mul_f32_e32 v3, v9, v20
	v_mul_f32_e32 v5, v9, v19
	s_delay_alu instid0(VALU_DEP_2) | instskip(NEXT) | instid1(VALU_DEP_2)
	v_fmac_f32_e32 v3, v8, v19
	v_fma_f32 v5, v8, v20, -v5
	ds_load_2addr_b64 v[17:20], v16 offset0:96 offset1:156
	s_wait_dscnt 0x0
	v_mul_f32_e32 v8, v22, v18
	v_mul_f32_e32 v9, v22, v17
	s_delay_alu instid0(VALU_DEP_2) | instskip(NEXT) | instid1(VALU_DEP_2)
	v_fmac_f32_e32 v8, v21, v17
	v_fma_f32 v9, v21, v18, -v9
	scratch_load_b64 v[21:22], off, off offset:204 th:TH_LOAD_LU ; 8-byte Folded Reload
	s_wait_loadcnt 0x0
	v_mul_f32_e32 v18, v22, v20
	v_mul_f32_e32 v16, v22, v19
	s_delay_alu instid0(VALU_DEP_2) | instskip(NEXT) | instid1(VALU_DEP_2)
	v_fmac_f32_e32 v18, v21, v19
	v_fma_f32 v19, v21, v20, -v16
	ds_load_2addr_b64 v[20:23], v11 offset0:16 offset1:76
	s_wait_dscnt 0x0
	v_mul_f32_e32 v26, v25, v21
	v_mul_f32_e32 v16, v25, v20
	s_delay_alu instid0(VALU_DEP_2) | instskip(NEXT) | instid1(VALU_DEP_2)
	v_fmac_f32_e32 v26, v24, v20
	v_fma_f32 v27, v24, v21, -v16
	s_clause 0x1
	scratch_load_b64 v[20:21], off, off offset:196 th:TH_LOAD_LU
	scratch_load_b64 v[24:25], off, off offset:188 th:TH_LOAD_LU
	s_wait_loadcnt 0x1
	v_mul_f32_e32 v16, v21, v23
	v_mul_f32_e32 v17, v21, v22
	s_delay_alu instid0(VALU_DEP_2) | instskip(NEXT) | instid1(VALU_DEP_2)
	v_fmac_f32_e32 v16, v20, v22
	v_fma_f32 v17, v20, v23, -v17
	ds_load_2addr_b64 v[20:23], v12 offset0:192 offset1:252
	s_wait_loadcnt_dscnt 0x0
	v_mul_f32_e32 v28, v25, v21
	s_delay_alu instid0(VALU_DEP_1) | instskip(SKIP_1) | instid1(VALU_DEP_1)
	v_fmac_f32_e32 v28, v24, v20
	v_mul_f32_e32 v20, v25, v20
	v_fma_f32 v29, v24, v21, -v20
	scratch_load_b64 v[24:25], off, off offset:220 th:TH_LOAD_LU ; 8-byte Folded Reload
	s_wait_loadcnt 0x0
	v_mul_f32_e32 v20, v25, v23
	v_mul_f32_e32 v21, v25, v22
	s_delay_alu instid0(VALU_DEP_2) | instskip(NEXT) | instid1(VALU_DEP_2)
	v_fmac_f32_e32 v20, v24, v22
	v_fma_f32 v21, v24, v23, -v21
	ds_load_2addr_b64 v[22:25], v255 offset0:120 offset1:216
	s_wait_dscnt 0x0
	v_mul_f32_e32 v30, v32, v25
	s_delay_alu instid0(VALU_DEP_1) | instskip(SKIP_1) | instid1(VALU_DEP_1)
	v_fmac_f32_e32 v30, v31, v24
	v_mul_f32_e32 v24, v32, v24
	v_fma_f32 v31, v31, v25, -v24
	scratch_load_b64 v[24:25], off, off offset:180 th:TH_LOAD_LU ; 8-byte Folded Reload
	s_wait_loadcnt 0x0
	v_mul_f32_e32 v32, v25, v23
	s_delay_alu instid0(VALU_DEP_1) | instskip(SKIP_1) | instid1(VALU_DEP_1)
	v_fmac_f32_e32 v32, v24, v22
	v_mul_f32_e32 v22, v25, v22
	v_fma_f32 v33, v24, v23, -v22
	ds_load_2addr_b64 v[22:25], v144 offset0:20 offset1:80
	s_wait_dscnt 0x0
	v_mul_f32_e32 v34, v36, v23
	s_delay_alu instid0(VALU_DEP_1) | instskip(SKIP_2) | instid1(VALU_DEP_2)
	v_fmac_f32_e32 v34, v35, v22
	v_mul_f32_e32 v22, v36, v22
	v_mul_f32_e32 v36, v38, v25
	v_fma_f32 v35, v35, v23, -v22
	v_mul_f32_e32 v22, v38, v24
	s_delay_alu instid0(VALU_DEP_3) | instskip(NEXT) | instid1(VALU_DEP_2)
	v_fmac_f32_e32 v36, v37, v24
	v_fma_f32 v37, v37, v25, -v22
	ds_load_2addr_b64 v[22:25], v15 offset0:40 offset1:136
	s_wait_dscnt 0x0
	v_mul_f32_e32 v38, v40, v25
	v_mul_f32_e32 v15, v40, v24
	s_delay_alu instid0(VALU_DEP_2) | instskip(NEXT) | instid1(VALU_DEP_2)
	v_fmac_f32_e32 v38, v39, v24
	v_fma_f32 v39, v39, v25, -v15
	scratch_load_b64 v[24:25], off, off offset:164 th:TH_LOAD_LU ; 8-byte Folded Reload
	s_wait_loadcnt 0x0
	v_mul_f32_e32 v40, v25, v23
	v_mul_f32_e32 v15, v25, v22
	s_delay_alu instid0(VALU_DEP_2) | instskip(NEXT) | instid1(VALU_DEP_2)
	v_fmac_f32_e32 v40, v24, v22
	v_fma_f32 v41, v24, v23, -v15
	ds_load_2addr_b64 v[22:25], v145 offset0:68 offset1:128
	s_wait_dscnt 0x0
	v_mul_f32_e32 v42, v44, v23
	v_mul_f32_e32 v15, v44, v22
	s_delay_alu instid0(VALU_DEP_2) | instskip(NEXT) | instid1(VALU_DEP_2)
	v_fmac_f32_e32 v42, v43, v22
	v_fma_f32 v43, v43, v23, -v15
	scratch_load_b64 v[22:23], off, off offset:76 th:TH_LOAD_LU ; 8-byte Folded Reload
	s_wait_loadcnt 0x0
	v_mul_f32_e32 v15, v23, v24
	v_mul_f32_e32 v44, v23, v25
	s_delay_alu instid0(VALU_DEP_2) | instskip(NEXT) | instid1(VALU_DEP_2)
	v_fma_f32 v45, v22, v25, -v15
	v_dual_fmac_f32 v44, v22, v24 :: v_dual_add_nc_u32 v15, 0x1c00, v255
	ds_load_2addr_b64 v[22:25], v15 offset0:88 offset1:184
	s_wait_dscnt 0x0
	v_mul_f32_e32 v46, v48, v25
	v_mul_f32_e32 v15, v48, v24
	s_delay_alu instid0(VALU_DEP_2) | instskip(NEXT) | instid1(VALU_DEP_2)
	v_fmac_f32_e32 v46, v47, v24
	v_fma_f32 v47, v47, v25, -v15
	scratch_load_b64 v[24:25], off, off offset:148 th:TH_LOAD_LU ; 8-byte Folded Reload
	s_wait_loadcnt 0x0
	v_mul_f32_e32 v48, v25, v23
	v_mul_f32_e32 v15, v25, v22
	s_delay_alu instid0(VALU_DEP_2) | instskip(NEXT) | instid1(VALU_DEP_2)
	v_fmac_f32_e32 v48, v24, v22
	v_fma_f32 v49, v24, v23, -v15
	ds_load_2addr_b64 v[22:25], v10 offset0:116 offset1:176
	s_wait_dscnt 0x0
	v_mul_f32_e32 v50, v52, v23
	v_mul_f32_e32 v15, v52, v22
	s_delay_alu instid0(VALU_DEP_2) | instskip(NEXT) | instid1(VALU_DEP_2)
	v_fmac_f32_e32 v50, v51, v22
	v_fma_f32 v51, v51, v23, -v15
	scratch_load_b64 v[22:23], off, off offset:108 th:TH_LOAD_LU ; 8-byte Folded Reload
	s_wait_loadcnt 0x0
	v_mul_f32_e32 v52, v23, v25
	v_mul_f32_e32 v15, v23, v24
	s_delay_alu instid0(VALU_DEP_2) | instskip(NEXT) | instid1(VALU_DEP_2)
	v_fmac_f32_e32 v52, v22, v24
	v_fma_f32 v53, v22, v25, -v15
	ds_load_2addr_b64 v[22:25], v11 offset0:136 offset1:232
	scratch_load_b32 v15, off, off offset:16 th:TH_LOAD_LU ; 4-byte Folded Reload
	s_wait_dscnt 0x0
	v_mul_f32_e32 v54, v56, v25
	v_mul_f32_e32 v11, v56, v24
	s_delay_alu instid0(VALU_DEP_2) | instskip(NEXT) | instid1(VALU_DEP_2)
	v_fmac_f32_e32 v54, v55, v24
	v_fma_f32 v55, v55, v25, -v11
	scratch_load_b64 v[24:25], off, off offset:124 th:TH_LOAD_LU ; 8-byte Folded Reload
	s_wait_loadcnt 0x0
	v_mul_f32_e32 v56, v25, v23
	v_mul_f32_e32 v11, v25, v22
	s_delay_alu instid0(VALU_DEP_2) | instskip(NEXT) | instid1(VALU_DEP_2)
	v_fmac_f32_e32 v56, v24, v22
	v_fma_f32 v57, v24, v23, -v11
	ds_load_2addr_b64 v[22:25], v12 offset0:36 offset1:96
	s_wait_dscnt 0x0
	v_mul_f32_e32 v58, v60, v23
	v_mul_f32_e32 v11, v60, v22
	s_delay_alu instid0(VALU_DEP_2) | instskip(NEXT) | instid1(VALU_DEP_2)
	v_fmac_f32_e32 v58, v59, v22
	v_fma_f32 v59, v59, v23, -v11
	scratch_load_b64 v[22:23], off, off offset:84 th:TH_LOAD_LU ; 8-byte Folded Reload
	s_wait_loadcnt 0x0
	v_mul_f32_e32 v60, v23, v25
	v_mul_f32_e32 v11, v23, v24
	s_delay_alu instid0(VALU_DEP_2) | instskip(NEXT) | instid1(VALU_DEP_2)
	v_fmac_f32_e32 v60, v22, v24
	v_fma_f32 v61, v22, v25, -v11
	ds_load_2addr_b64 v[22:25], v13 offset0:56 offset1:152
	scratch_load_b64 v[12:13], off, off offset:28 th:TH_LOAD_LU ; 8-byte Folded Reload
	s_wait_loadcnt_dscnt 0x0
	v_mul_f32_e32 v62, v13, v25
	v_mul_f32_e32 v11, v13, v24
	s_delay_alu instid0(VALU_DEP_2) | instskip(NEXT) | instid1(VALU_DEP_2)
	v_fmac_f32_e32 v62, v12, v24
	v_fma_f32 v63, v12, v25, -v11
	scratch_load_b64 v[12:13], off, off offset:100 th:TH_LOAD_LU ; 8-byte Folded Reload
	v_cvt_f64_f32_e32 v[24:25], v27
	s_wait_alu 0xfffe
	s_delay_alu instid0(VALU_DEP_1) | instskip(SKIP_3) | instid1(VALU_DEP_2)
	v_mul_f64_e32 v[24:25], s[2:3], v[24:25]
	s_wait_loadcnt 0x0
	v_mul_f32_e32 v64, v13, v23
	v_mul_f32_e32 v11, v13, v22
	v_fmac_f32_e32 v64, v12, v22
	s_delay_alu instid0(VALU_DEP_2) | instskip(SKIP_4) | instid1(VALU_DEP_1)
	v_fma_f32 v65, v12, v23, -v11
	scratch_load_b64 v[22:23], off, off offset:36 th:TH_LOAD_LU ; 8-byte Folded Reload
	ds_load_2addr_b64 v[11:14], v14 offset0:84 offset1:144
	s_wait_loadcnt_dscnt 0x0
	v_mul_f32_e32 v66, v23, v12
	v_fmac_f32_e32 v66, v22, v11
	v_mul_f32_e32 v11, v23, v11
	s_delay_alu instid0(VALU_DEP_1) | instskip(SKIP_4) | instid1(VALU_DEP_2)
	v_fma_f32 v67, v22, v12, -v11
	scratch_load_b64 v[22:23], off, off offset:92 th:TH_LOAD_LU ; 8-byte Folded Reload
	s_wait_loadcnt 0x0
	v_mul_f32_e32 v11, v23, v13
	v_mul_f32_e32 v68, v23, v14
	v_fma_f32 v69, v22, v14, -v11
	scratch_load_b64 v[11:12], off, off offset:8 th:TH_LOAD_LU ; 8-byte Folded Reload
	v_fmac_f32_e32 v68, v22, v13
	v_cvt_f64_f32_e32 v[22:23], v0
	v_cvt_f64_f32_e32 v[0:1], v1
	s_delay_alu instid0(VALU_DEP_2) | instskip(NEXT) | instid1(VALU_DEP_2)
	v_mul_f64_e32 v[22:23], s[2:3], v[22:23]
	v_mul_f64_e32 v[0:1], s[2:3], v[0:1]
	s_delay_alu instid0(VALU_DEP_2) | instskip(NEXT) | instid1(VALU_DEP_2)
	v_cvt_f32_f64_e32 v22, v[22:23]
	v_cvt_f32_f64_e32 v23, v[0:1]
	s_wait_loadcnt 0x0
	v_mov_b32_e32 v13, v11
	s_delay_alu instid0(VALU_DEP_1) | instskip(NEXT) | instid1(VALU_DEP_1)
	v_mad_co_u64_u32 v[11:12], null, s6, v13, 0
	v_mad_co_u64_u32 v[12:13], null, s7, v13, v[12:13]
	;; [unrolled: 1-line block ×3, first 2 shown]
	s_delay_alu instid0(VALU_DEP_2) | instskip(SKIP_1) | instid1(VALU_DEP_3)
	v_lshlrev_b64_e32 v[0:1], 3, v[11:12]
	v_cvt_f64_f32_e32 v[11:12], v30
	v_mad_co_u64_u32 v[14:15], null, s5, v15, v[14:15]
	s_delay_alu instid0(VALU_DEP_3) | instskip(SKIP_1) | instid1(VALU_DEP_4)
	v_add_co_u32 v70, s0, s8, v0
	s_wait_alu 0xf1ff
	v_add_co_ci_u32_e64 v71, s0, s9, v1, s0
	s_delay_alu instid0(VALU_DEP_3) | instskip(SKIP_1) | instid1(VALU_DEP_2)
	v_lshlrev_b64_e32 v[0:1], 3, v[13:14]
	v_cvt_f64_f32_e32 v[13:14], v31
	v_add_co_u32 v0, s0, v70, v0
	s_wait_alu 0xf1ff
	s_delay_alu instid0(VALU_DEP_3)
	v_add_co_ci_u32_e64 v1, s0, v71, v1, s0
	s_mul_u64 s[0:1], s[4:5], 0xd8
	s_wait_alu 0xfffe
	s_lshl_b64 s[6:7], s[0:1], 3
	global_store_b64 v[0:1], v[22:23], off
	s_wait_alu 0xfffe
	v_add_co_u32 v0, s0, v0, s6
	s_wait_alu 0xf1ff
	v_add_co_ci_u32_e64 v1, s0, s7, v1, s0
	v_cvt_f64_f32_e32 v[22:23], v47
	v_mul_f64_e32 v[11:12], s[2:3], v[11:12]
	v_mul_f64_e32 v[13:14], s[2:3], v[13:14]
	s_delay_alu instid0(VALU_DEP_3) | instskip(NEXT) | instid1(VALU_DEP_3)
	v_mul_f64_e32 v[22:23], s[2:3], v[22:23]
	v_cvt_f32_f64_e32 v11, v[11:12]
	s_delay_alu instid0(VALU_DEP_3)
	v_cvt_f32_f64_e32 v12, v[13:14]
	v_cvt_f64_f32_e32 v[13:14], v6
	v_cvt_f64_f32_e32 v[6:7], v7
	global_store_b64 v[0:1], v[11:12], off
	v_mul_f64_e32 v[13:14], s[2:3], v[13:14]
	v_mul_f64_e32 v[6:7], s[2:3], v[6:7]
	v_cvt_f64_f32_e32 v[11:12], v39
	v_add_co_u32 v0, s0, v0, s6
	s_wait_alu 0xf1ff
	v_add_co_ci_u32_e64 v1, s0, s7, v1, s0
	v_cvt_f32_f64_e32 v13, v[13:14]
	v_cvt_f32_f64_e32 v14, v[6:7]
	v_cvt_f64_f32_e32 v[6:7], v38
	v_mul_f64_e32 v[11:12], s[2:3], v[11:12]
	global_store_b64 v[0:1], v[13:14], off
	v_mul_f64_e32 v[6:7], s[2:3], v[6:7]
	scratch_load_b32 v13, off, off offset:24 th:TH_LOAD_LU ; 4-byte Folded Reload
	v_add_co_u32 v0, s0, v0, s6
	s_wait_alu 0xf1ff
	v_add_co_ci_u32_e64 v1, s0, s7, v1, s0
	v_cvt_f32_f64_e32 v6, v[6:7]
	v_cvt_f32_f64_e32 v7, v[11:12]
	v_cvt_f64_f32_e32 v[11:12], v8
	v_cvt_f64_f32_e32 v[8:9], v9
	global_store_b64 v[0:1], v[6:7], off
	v_mul_f64_e32 v[11:12], s[2:3], v[11:12]
	v_mul_f64_e32 v[8:9], s[2:3], v[8:9]
	v_add_co_u32 v0, s0, v0, s6
	s_wait_alu 0xf1ff
	v_add_co_ci_u32_e64 v1, s0, s7, v1, s0
	v_cvt_f64_f32_e32 v[6:7], v54
	v_cvt_f32_f64_e32 v11, v[11:12]
	v_cvt_f32_f64_e32 v12, v[8:9]
	v_cvt_f64_f32_e32 v[8:9], v46
	s_delay_alu instid0(VALU_DEP_4)
	v_mul_f64_e32 v[6:7], s[2:3], v[6:7]
	global_store_b64 v[0:1], v[11:12], off
	v_mul_f64_e32 v[8:9], s[2:3], v[8:9]
	v_add_co_u32 v0, s0, v0, s6
	s_wait_alu 0xf1ff
	v_add_co_ci_u32_e64 v1, s0, s7, v1, s0
	v_cvt_f32_f64_e32 v6, v[6:7]
	v_cvt_f64_f32_e32 v[11:12], v29
	v_cvt_f64_f32_e32 v[29:30], v65
	v_cvt_f32_f64_e32 v8, v[8:9]
	v_cvt_f32_f64_e32 v9, v[22:23]
	v_cvt_f64_f32_e32 v[22:23], v26
	v_mul_f64_e32 v[11:12], s[2:3], v[11:12]
	v_mul_f64_e32 v[29:30], s[2:3], v[29:30]
	global_store_b64 v[0:1], v[8:9], off
	v_cvt_f64_f32_e32 v[8:9], v55
	v_mul_f64_e32 v[22:23], s[2:3], v[22:23]
	v_add_co_u32 v0, s0, v0, s6
	s_wait_alu 0xf1ff
	v_add_co_ci_u32_e64 v1, s0, s7, v1, s0
	s_delay_alu instid0(VALU_DEP_4) | instskip(NEXT) | instid1(VALU_DEP_4)
	v_mul_f64_e32 v[8:9], s[2:3], v[8:9]
	v_cvt_f32_f64_e32 v22, v[22:23]
	v_cvt_f32_f64_e32 v23, v[24:25]
	v_cvt_f64_f32_e32 v[25:26], v57
	s_delay_alu instid0(VALU_DEP_4)
	v_cvt_f32_f64_e32 v7, v[8:9]
	v_cvt_f64_f32_e32 v[8:9], v28
	global_store_b64 v[0:1], v[22:23], off
	v_add_co_u32 v0, s0, v0, s6
	s_wait_alu 0xf1ff
	v_add_co_ci_u32_e64 v1, s0, s7, v1, s0
	v_cvt_f64_f32_e32 v[23:24], v53
	v_cvt_f64_f32_e32 v[27:28], v61
	v_mul_f64_e32 v[25:26], s[2:3], v[25:26]
	v_mul_f64_e32 v[8:9], s[2:3], v[8:9]
	s_delay_alu instid0(VALU_DEP_4) | instskip(NEXT) | instid1(VALU_DEP_4)
	v_mul_f64_e32 v[23:24], s[2:3], v[23:24]
	v_mul_f64_e32 v[27:28], s[2:3], v[27:28]
	s_delay_alu instid0(VALU_DEP_3) | instskip(SKIP_3) | instid1(VALU_DEP_1)
	v_cvt_f32_f64_e32 v8, v[8:9]
	v_cvt_f32_f64_e32 v9, v[11:12]
	s_wait_loadcnt 0x0
	v_mad_co_u64_u32 v[11:12], null, s4, v13, 0
	v_mad_co_u64_u32 v[12:13], null, s5, v13, v[12:13]
	v_cvt_f64_f32_e32 v[13:14], v35
	s_delay_alu instid0(VALU_DEP_2) | instskip(NEXT) | instid1(VALU_DEP_1)
	v_lshlrev_b64_e32 v[11:12], 3, v[11:12]
	v_add_co_u32 v11, s0, v70, v11
	s_wait_alu 0xf1ff
	s_delay_alu instid0(VALU_DEP_2)
	v_add_co_ci_u32_e64 v12, s0, v71, v12, s0
	global_store_b64 v[0:1], v[6:7], off
	global_store_b64 v[11:12], v[8:9], off
	v_cvt_f64_f32_e32 v[6:7], v62
	v_cvt_f64_f32_e32 v[8:9], v63
	;; [unrolled: 1-line block ×4, first 2 shown]
	v_mad_co_u64_u32 v[0:1], null, 0xd80, s4, v[0:1]
	s_movk_i32 s0, 0xf8a4
	s_mov_b32 s1, -1
	s_wait_alu 0xfffe
	s_mul_u64 s[0:1], s[4:5], s[0:1]
	v_mul_f64_e32 v[13:14], s[2:3], v[13:14]
	s_delay_alu instid0(VALU_DEP_2)
	v_add_nc_u32_e32 v1, s10, v1
	s_wait_alu 0xfffe
	s_lshl_b64 s[8:9], s[0:1], 3
	v_mul_f64_e32 v[6:7], s[2:3], v[6:7]
	v_mul_f64_e32 v[8:9], s[2:3], v[8:9]
	;; [unrolled: 1-line block ×4, first 2 shown]
	s_delay_alu instid0(VALU_DEP_4) | instskip(NEXT) | instid1(VALU_DEP_4)
	v_cvt_f32_f64_e32 v6, v[6:7]
	v_cvt_f32_f64_e32 v7, v[8:9]
	v_cvt_f64_f32_e32 v[8:9], v2
	v_cvt_f64_f32_e32 v[2:3], v3
	global_store_b64 v[0:1], v[6:7], off
	v_mul_f64_e32 v[8:9], s[2:3], v[8:9]
	v_mul_f64_e32 v[2:3], s[2:3], v[2:3]
	s_wait_alu 0xfffe
	v_add_co_u32 v0, s0, v0, s8
	s_wait_alu 0xf1ff
	v_add_co_ci_u32_e64 v1, s0, s9, v1, s0
	v_cvt_f64_f32_e32 v[6:7], v19
	v_cvt_f32_f64_e32 v8, v[8:9]
	v_cvt_f32_f64_e32 v9, v[11:12]
	v_cvt_f64_f32_e32 v[11:12], v34
	v_cvt_f32_f64_e32 v2, v[2:3]
	v_cvt_f32_f64_e32 v3, v[4:5]
	v_cvt_f64_f32_e32 v[4:5], v43
	v_mul_f64_e32 v[6:7], s[2:3], v[6:7]
	global_store_b64 v[0:1], v[8:9], off
	v_mul_f64_e32 v[11:12], s[2:3], v[11:12]
	v_add_co_u32 v0, s0, v0, s6
	s_wait_alu 0xf1ff
	v_add_co_ci_u32_e64 v1, s0, s7, v1, s0
	v_mul_f64_e32 v[4:5], s[2:3], v[4:5]
	v_cvt_f64_f32_e32 v[8:9], v59
	v_cvt_f32_f64_e32 v11, v[11:12]
	v_cvt_f32_f64_e32 v12, v[13:14]
	v_cvt_f64_f32_e32 v[13:14], v33
	scratch_load_b32 v33, off, off offset:20 th:TH_LOAD_LU ; 4-byte Folded Reload
	v_mul_f64_e32 v[8:9], s[2:3], v[8:9]
	global_store_b64 v[0:1], v[11:12], off
	v_add_co_u32 v0, s0, v0, s6
	s_wait_alu 0xf1ff
	v_add_co_ci_u32_e64 v1, s0, s7, v1, s0
	v_cvt_f64_f32_e32 v[11:12], v21
	v_mul_f64_e32 v[13:14], s[2:3], v[13:14]
	v_cvt_f64_f32_e32 v[21:22], v49
	global_store_b64 v[0:1], v[2:3], off
	v_cvt_f64_f32_e32 v[2:3], v42
	v_add_co_u32 v0, s0, v0, s6
	s_wait_alu 0xf1ff
	v_add_co_ci_u32_e64 v1, s0, s7, v1, s0
	v_mul_f64_e32 v[11:12], s[2:3], v[11:12]
	v_mul_f64_e32 v[21:22], s[2:3], v[21:22]
	;; [unrolled: 1-line block ×3, first 2 shown]
	s_delay_alu instid0(VALU_DEP_1)
	v_cvt_f32_f64_e32 v2, v[2:3]
	v_cvt_f32_f64_e32 v3, v[4:5]
	v_cvt_f64_f32_e32 v[4:5], v18
	global_store_b64 v[0:1], v[2:3], off
	v_mul_f64_e32 v[4:5], s[2:3], v[4:5]
	v_cvt_f64_f32_e32 v[2:3], v50
	v_add_co_u32 v0, s0, v0, s6
	s_wait_alu 0xf1ff
	v_add_co_ci_u32_e64 v1, s0, s7, v1, s0
	s_delay_alu instid0(VALU_DEP_4)
	v_cvt_f32_f64_e32 v4, v[4:5]
	v_cvt_f32_f64_e32 v5, v[6:7]
	v_cvt_f64_f32_e32 v[6:7], v51
	v_mul_f64_e32 v[2:3], s[2:3], v[2:3]
	global_store_b64 v[0:1], v[4:5], off
	v_mul_f64_e32 v[6:7], s[2:3], v[6:7]
	v_cvt_f32_f64_e32 v2, v[2:3]
	v_cvt_f64_f32_e32 v[4:5], v16
	v_add_co_u32 v0, s0, v0, s6
	s_wait_alu 0xf1ff
	v_add_co_ci_u32_e64 v1, s0, s7, v1, s0
	v_cvt_f64_f32_e32 v[15:16], v37
	v_cvt_f32_f64_e32 v3, v[6:7]
	v_cvt_f64_f32_e32 v[6:7], v17
	v_mul_f64_e32 v[4:5], s[2:3], v[4:5]
	v_cvt_f64_f32_e32 v[17:18], v41
	v_mul_f64_e32 v[15:16], s[2:3], v[15:16]
	global_store_b64 v[0:1], v[2:3], off
	v_mul_f64_e32 v[6:7], s[2:3], v[6:7]
	v_cvt_f32_f64_e32 v4, v[4:5]
	v_cvt_f64_f32_e32 v[2:3], v66
	v_add_co_u32 v0, s0, v0, s6
	s_wait_alu 0xf1ff
	v_add_co_ci_u32_e64 v1, s0, s7, v1, s0
	v_mul_f64_e32 v[17:18], s[2:3], v[17:18]
	v_cvt_f32_f64_e32 v5, v[6:7]
	v_cvt_f64_f32_e32 v[6:7], v58
	v_mul_f64_e32 v[2:3], s[2:3], v[2:3]
	global_store_b64 v[0:1], v[4:5], off
	v_mul_f64_e32 v[6:7], s[2:3], v[6:7]
	v_cvt_f64_f32_e32 v[4:5], v32
	v_add_co_u32 v0, s0, v0, s6
	s_wait_alu 0xf1ff
	v_add_co_ci_u32_e64 v1, s0, s7, v1, s0
	v_cvt_f32_f64_e32 v2, v[2:3]
	v_cvt_f64_f32_e32 v[31:32], v69
	v_cvt_f32_f64_e32 v6, v[6:7]
	v_cvt_f32_f64_e32 v7, v[8:9]
	v_cvt_f64_f32_e32 v[8:9], v20
	v_mul_f64_e32 v[4:5], s[2:3], v[4:5]
	v_cvt_f64_f32_e32 v[19:20], v45
	v_mul_f64_e32 v[31:32], s[2:3], v[31:32]
	global_store_b64 v[0:1], v[6:7], off
	v_mul_f64_e32 v[8:9], s[2:3], v[8:9]
	v_cvt_f64_f32_e32 v[6:7], v40
	v_add_co_u32 v0, s0, v0, s6
	s_wait_alu 0xf1ff
	v_add_co_ci_u32_e64 v1, s0, s7, v1, s0
	v_cvt_f32_f64_e32 v4, v[4:5]
	v_cvt_f32_f64_e32 v5, v[13:14]
	v_cvt_f64_f32_e32 v[13:14], v48
	v_mul_f64_e32 v[19:20], s[2:3], v[19:20]
	v_cvt_f32_f64_e32 v8, v[8:9]
	v_cvt_f32_f64_e32 v9, v[11:12]
	v_cvt_f64_f32_e32 v[11:12], v67
	v_mul_f64_e32 v[6:7], s[2:3], v[6:7]
	v_mul_f64_e32 v[13:14], s[2:3], v[13:14]
	global_store_b64 v[0:1], v[8:9], off
	v_mul_f64_e32 v[11:12], s[2:3], v[11:12]
	v_cvt_f64_f32_e32 v[8:9], v44
	v_add_co_u32 v0, s0, v0, s6
	s_wait_alu 0xf1ff
	v_add_co_ci_u32_e64 v1, s0, s7, v1, s0
	v_cvt_f32_f64_e32 v6, v[6:7]
	v_cvt_f32_f64_e32 v7, v[17:18]
	v_cvt_f64_f32_e32 v[17:18], v56
	v_cvt_f32_f64_e32 v13, v[13:14]
	v_cvt_f32_f64_e32 v14, v[21:22]
	v_cvt_f64_f32_e32 v[21:22], v68
	v_cvt_f32_f64_e32 v3, v[11:12]
	v_cvt_f64_f32_e32 v[11:12], v36
	v_mul_f64_e32 v[8:9], s[2:3], v[8:9]
	v_mul_f64_e32 v[17:18], s[2:3], v[17:18]
	;; [unrolled: 1-line block ×3, first 2 shown]
	global_store_b64 v[0:1], v[2:3], off
	v_mul_f64_e32 v[11:12], s[2:3], v[11:12]
	v_cvt_f64_f32_e32 v[2:3], v60
	v_cvt_f32_f64_e32 v8, v[8:9]
	v_cvt_f32_f64_e32 v9, v[19:20]
	v_cvt_f64_f32_e32 v[19:20], v64
	v_add_co_u32 v0, s0, v0, s8
	s_wait_alu 0xf1ff
	v_add_co_ci_u32_e64 v1, s0, s9, v1, s0
	v_cvt_f32_f64_e32 v17, v[17:18]
	v_cvt_f32_f64_e32 v18, v[25:26]
	v_add_co_u32 v25, s0, v0, s6
	s_wait_alu 0xf1ff
	v_add_co_ci_u32_e64 v26, s0, s7, v1, s0
	v_cvt_f32_f64_e32 v21, v[21:22]
	v_cvt_f32_f64_e32 v22, v[31:32]
	;; [unrolled: 1-line block ×4, first 2 shown]
	v_cvt_f64_f32_e32 v[15:16], v52
	v_mul_f64_e32 v[2:3], s[2:3], v[2:3]
	v_mul_f64_e32 v[19:20], s[2:3], v[19:20]
	s_delay_alu instid0(VALU_DEP_3) | instskip(NEXT) | instid1(VALU_DEP_3)
	v_mul_f64_e32 v[15:16], s[2:3], v[15:16]
	v_cvt_f32_f64_e32 v2, v[2:3]
	v_cvt_f32_f64_e32 v3, v[27:28]
	v_add_co_u32 v27, s0, v25, s6
	s_wait_alu 0xf1ff
	v_add_co_ci_u32_e64 v28, s0, s7, v26, s0
	v_cvt_f32_f64_e32 v19, v[19:20]
	v_cvt_f32_f64_e32 v20, v[29:30]
	global_store_b64 v[0:1], v[4:5], off
	global_store_b64 v[25:26], v[11:12], off
	;; [unrolled: 1-line block ×3, first 2 shown]
	v_mad_co_u64_u32 v[29:30], null, 0xd80, s4, v[27:28]
	s_delay_alu instid0(VALU_DEP_1) | instskip(NEXT) | instid1(VALU_DEP_2)
	v_add_nc_u32_e32 v30, s10, v30
	v_add_co_u32 v4, s0, v29, s6
	s_wait_alu 0xf1ff
	s_delay_alu instid0(VALU_DEP_2) | instskip(NEXT) | instid1(VALU_DEP_2)
	v_add_co_ci_u32_e64 v5, s0, s7, v30, s0
	v_add_co_u32 v6, s0, v4, s6
	s_wait_alu 0xf1ff
	s_delay_alu instid0(VALU_DEP_2) | instskip(SKIP_4) | instid1(VALU_DEP_1)
	v_add_co_ci_u32_e64 v7, s0, s7, v5, s0
	v_cvt_f32_f64_e32 v15, v[15:16]
	v_cvt_f32_f64_e32 v16, v[23:24]
	s_wait_loadcnt 0x0
	v_mad_co_u64_u32 v[23:24], null, s4, v33, 0
	v_mad_co_u64_u32 v[31:32], null, s5, v33, v[24:25]
	s_delay_alu instid0(VALU_DEP_1) | instskip(NEXT) | instid1(VALU_DEP_1)
	v_mov_b32_e32 v24, v31
	v_lshlrev_b64_e32 v[0:1], 3, v[23:24]
	s_delay_alu instid0(VALU_DEP_1) | instskip(SKIP_1) | instid1(VALU_DEP_2)
	v_add_co_u32 v0, s0, v70, v0
	s_wait_alu 0xf1ff
	v_add_co_ci_u32_e64 v1, s0, v71, v1, s0
	v_add_co_u32 v11, s0, v6, s6
	s_wait_alu 0xf1ff
	v_add_co_ci_u32_e64 v12, s0, s7, v7, s0
	global_store_b64 v[0:1], v[8:9], off
	v_add_co_u32 v8, s0, v11, s6
	s_wait_alu 0xf1ff
	v_add_co_ci_u32_e64 v9, s0, s7, v12, s0
	global_store_b64 v[29:30], v[13:14], off
	;; [unrolled: 4-line block ×3, first 2 shown]
	global_store_b64 v[6:7], v[17:18], off
	global_store_b64 v[11:12], v[2:3], off
	;; [unrolled: 1-line block ×4, first 2 shown]
	s_and_b32 exec_lo, exec_lo, vcc_lo
	s_cbranch_execz .LBB0_15
; %bb.14:
	scratch_load_b64 v[11:12], off, off th:TH_LOAD_LU ; 8-byte Folded Reload
	v_add_nc_u32_e32 v2, 0x500, v255
	v_add_co_u32 v0, vcc_lo, v0, s8
	s_wait_alu 0xfffd
	v_add_co_ci_u32_e32 v1, vcc_lo, s9, v1, vcc_lo
	ds_load_2addr_b64 v[2:5], v2 offset0:20 offset1:236
	s_wait_loadcnt 0x0
	global_load_b64 v[6:7], v[11:12], off offset:1440
	s_wait_loadcnt_dscnt 0x0
	v_mul_f32_e32 v8, v3, v7
	v_mul_f32_e32 v7, v2, v7
	s_delay_alu instid0(VALU_DEP_2) | instskip(NEXT) | instid1(VALU_DEP_2)
	v_fmac_f32_e32 v8, v2, v6
	v_fma_f32 v6, v6, v3, -v7
	s_delay_alu instid0(VALU_DEP_2) | instskip(NEXT) | instid1(VALU_DEP_2)
	v_cvt_f64_f32_e32 v[2:3], v8
	v_cvt_f64_f32_e32 v[6:7], v6
	s_delay_alu instid0(VALU_DEP_2) | instskip(NEXT) | instid1(VALU_DEP_2)
	v_mul_f64_e32 v[2:3], s[2:3], v[2:3]
	v_mul_f64_e32 v[6:7], s[2:3], v[6:7]
	s_delay_alu instid0(VALU_DEP_2) | instskip(NEXT) | instid1(VALU_DEP_2)
	v_cvt_f32_f64_e32 v2, v[2:3]
	v_cvt_f32_f64_e32 v3, v[6:7]
	global_store_b64 v[0:1], v[2:3], off
	global_load_b64 v[2:3], v[11:12], off offset:3168
	s_wait_loadcnt 0x0
	v_mul_f32_e32 v6, v5, v3
	v_mul_f32_e32 v3, v4, v3
	s_delay_alu instid0(VALU_DEP_2) | instskip(NEXT) | instid1(VALU_DEP_2)
	v_fmac_f32_e32 v6, v4, v2
	v_fma_f32 v4, v2, v5, -v3
	s_delay_alu instid0(VALU_DEP_2) | instskip(NEXT) | instid1(VALU_DEP_2)
	v_cvt_f64_f32_e32 v[2:3], v6
	v_cvt_f64_f32_e32 v[4:5], v4
	s_delay_alu instid0(VALU_DEP_2) | instskip(NEXT) | instid1(VALU_DEP_2)
	v_mul_f64_e32 v[2:3], s[2:3], v[2:3]
	v_mul_f64_e32 v[4:5], s[2:3], v[4:5]
	s_delay_alu instid0(VALU_DEP_2) | instskip(NEXT) | instid1(VALU_DEP_2)
	v_cvt_f32_f64_e32 v2, v[2:3]
	v_cvt_f32_f64_e32 v3, v[4:5]
	v_add_co_u32 v4, vcc_lo, v0, s6
	s_wait_alu 0xfffd
	v_add_co_ci_u32_e32 v5, vcc_lo, s7, v1, vcc_lo
	v_add_nc_u32_e32 v0, 0x1200, v255
	global_store_b64 v[4:5], v[2:3], off
	global_load_b64 v[6:7], v[11:12], off offset:4896
	ds_load_2addr_b64 v[0:3], v0 offset0:36 offset1:252
	v_add_co_u32 v4, vcc_lo, v4, s6
	s_wait_alu 0xfffd
	v_add_co_ci_u32_e32 v5, vcc_lo, s7, v5, vcc_lo
	s_wait_loadcnt_dscnt 0x0
	v_mul_f32_e32 v8, v1, v7
	v_mul_f32_e32 v7, v0, v7
	s_delay_alu instid0(VALU_DEP_2) | instskip(NEXT) | instid1(VALU_DEP_2)
	v_fmac_f32_e32 v8, v0, v6
	v_fma_f32 v6, v6, v1, -v7
	s_delay_alu instid0(VALU_DEP_2) | instskip(NEXT) | instid1(VALU_DEP_2)
	v_cvt_f64_f32_e32 v[0:1], v8
	v_cvt_f64_f32_e32 v[6:7], v6
	s_delay_alu instid0(VALU_DEP_2) | instskip(NEXT) | instid1(VALU_DEP_2)
	v_mul_f64_e32 v[0:1], s[2:3], v[0:1]
	v_mul_f64_e32 v[6:7], s[2:3], v[6:7]
	s_delay_alu instid0(VALU_DEP_2) | instskip(NEXT) | instid1(VALU_DEP_2)
	v_cvt_f32_f64_e32 v0, v[0:1]
	v_cvt_f32_f64_e32 v1, v[6:7]
	global_store_b64 v[4:5], v[0:1], off
	global_load_b64 v[0:1], v[11:12], off offset:6624
	v_add_co_u32 v4, vcc_lo, v4, s6
	s_wait_alu 0xfffd
	v_add_co_ci_u32_e32 v5, vcc_lo, s7, v5, vcc_lo
	s_wait_loadcnt 0x0
	v_mul_f32_e32 v6, v3, v1
	v_mul_f32_e32 v1, v2, v1
	s_delay_alu instid0(VALU_DEP_2) | instskip(NEXT) | instid1(VALU_DEP_2)
	v_fmac_f32_e32 v6, v2, v0
	v_fma_f32 v2, v0, v3, -v1
	s_delay_alu instid0(VALU_DEP_2) | instskip(NEXT) | instid1(VALU_DEP_2)
	v_cvt_f64_f32_e32 v[0:1], v6
	v_cvt_f64_f32_e32 v[2:3], v2
	s_delay_alu instid0(VALU_DEP_2) | instskip(NEXT) | instid1(VALU_DEP_2)
	v_mul_f64_e32 v[0:1], s[2:3], v[0:1]
	v_mul_f64_e32 v[2:3], s[2:3], v[2:3]
	s_delay_alu instid0(VALU_DEP_2) | instskip(NEXT) | instid1(VALU_DEP_2)
	v_cvt_f32_f64_e32 v0, v[0:1]
	v_cvt_f32_f64_e32 v1, v[2:3]
	global_store_b64 v[4:5], v[0:1], off
	global_load_b64 v[6:7], v[11:12], off offset:8352
	ds_load_2addr_b64 v[0:3], v10 offset0:20 offset1:236
	v_add_co_u32 v4, vcc_lo, v4, s6
	s_wait_alu 0xfffd
	v_add_co_ci_u32_e32 v5, vcc_lo, s7, v5, vcc_lo
	s_wait_loadcnt_dscnt 0x0
	v_mul_f32_e32 v8, v1, v7
	v_mul_f32_e32 v7, v0, v7
	s_delay_alu instid0(VALU_DEP_2) | instskip(NEXT) | instid1(VALU_DEP_2)
	v_fmac_f32_e32 v8, v0, v6
	v_fma_f32 v6, v6, v1, -v7
	s_delay_alu instid0(VALU_DEP_2) | instskip(NEXT) | instid1(VALU_DEP_2)
	v_cvt_f64_f32_e32 v[0:1], v8
	v_cvt_f64_f32_e32 v[6:7], v6
	s_delay_alu instid0(VALU_DEP_2) | instskip(NEXT) | instid1(VALU_DEP_2)
	v_mul_f64_e32 v[0:1], s[2:3], v[0:1]
	v_mul_f64_e32 v[6:7], s[2:3], v[6:7]
	s_delay_alu instid0(VALU_DEP_2) | instskip(NEXT) | instid1(VALU_DEP_2)
	v_cvt_f32_f64_e32 v0, v[0:1]
	v_cvt_f32_f64_e32 v1, v[6:7]
	global_store_b64 v[4:5], v[0:1], off
	global_load_b64 v[0:1], v[11:12], off offset:10080
	v_add_co_u32 v4, vcc_lo, v4, s6
	s_wait_alu 0xfffd
	v_add_co_ci_u32_e32 v5, vcc_lo, s7, v5, vcc_lo
	s_wait_loadcnt 0x0
	v_mul_f32_e32 v6, v3, v1
	v_mul_f32_e32 v1, v2, v1
	s_delay_alu instid0(VALU_DEP_2) | instskip(NEXT) | instid1(VALU_DEP_2)
	v_fmac_f32_e32 v6, v2, v0
	v_fma_f32 v2, v0, v3, -v1
	s_delay_alu instid0(VALU_DEP_2) | instskip(NEXT) | instid1(VALU_DEP_2)
	v_cvt_f64_f32_e32 v[0:1], v6
	v_cvt_f64_f32_e32 v[2:3], v2
	s_delay_alu instid0(VALU_DEP_2) | instskip(NEXT) | instid1(VALU_DEP_2)
	v_mul_f64_e32 v[0:1], s[2:3], v[0:1]
	v_mul_f64_e32 v[2:3], s[2:3], v[2:3]
	s_delay_alu instid0(VALU_DEP_2) | instskip(NEXT) | instid1(VALU_DEP_2)
	v_cvt_f32_f64_e32 v0, v[0:1]
	v_cvt_f32_f64_e32 v1, v[2:3]
	global_store_b64 v[4:5], v[0:1], off
	global_load_b64 v[6:7], v[11:12], off offset:11808
	v_add_nc_u32_e32 v0, 0x2e00, v255
	v_add_co_u32 v4, vcc_lo, v4, s6
	s_wait_alu 0xfffd
	v_add_co_ci_u32_e32 v5, vcc_lo, s7, v5, vcc_lo
	ds_load_2addr_b64 v[0:3], v0 offset0:4 offset1:220
	s_wait_loadcnt_dscnt 0x0
	v_mul_f32_e32 v8, v1, v7
	v_mul_f32_e32 v7, v0, v7
	s_delay_alu instid0(VALU_DEP_2) | instskip(NEXT) | instid1(VALU_DEP_2)
	v_fmac_f32_e32 v8, v0, v6
	v_fma_f32 v6, v6, v1, -v7
	s_delay_alu instid0(VALU_DEP_2) | instskip(NEXT) | instid1(VALU_DEP_2)
	v_cvt_f64_f32_e32 v[0:1], v8
	v_cvt_f64_f32_e32 v[6:7], v6
	s_delay_alu instid0(VALU_DEP_2) | instskip(NEXT) | instid1(VALU_DEP_2)
	v_mul_f64_e32 v[0:1], s[2:3], v[0:1]
	v_mul_f64_e32 v[6:7], s[2:3], v[6:7]
	s_delay_alu instid0(VALU_DEP_2) | instskip(NEXT) | instid1(VALU_DEP_2)
	v_cvt_f32_f64_e32 v0, v[0:1]
	v_cvt_f32_f64_e32 v1, v[6:7]
	global_store_b64 v[4:5], v[0:1], off
	global_load_b64 v[0:1], v[11:12], off offset:13536
	v_add_co_u32 v4, vcc_lo, v4, s6
	s_wait_alu 0xfffd
	v_add_co_ci_u32_e32 v5, vcc_lo, s7, v5, vcc_lo
	s_wait_loadcnt 0x0
	v_mul_f32_e32 v6, v3, v1
	v_mul_f32_e32 v1, v2, v1
	s_delay_alu instid0(VALU_DEP_2) | instskip(NEXT) | instid1(VALU_DEP_2)
	v_fmac_f32_e32 v6, v2, v0
	v_fma_f32 v2, v0, v3, -v1
	s_delay_alu instid0(VALU_DEP_2) | instskip(NEXT) | instid1(VALU_DEP_2)
	v_cvt_f64_f32_e32 v[0:1], v6
	v_cvt_f64_f32_e32 v[2:3], v2
	s_delay_alu instid0(VALU_DEP_2) | instskip(NEXT) | instid1(VALU_DEP_2)
	v_mul_f64_e32 v[0:1], s[2:3], v[0:1]
	v_mul_f64_e32 v[2:3], s[2:3], v[2:3]
	s_delay_alu instid0(VALU_DEP_2) | instskip(NEXT) | instid1(VALU_DEP_2)
	v_cvt_f32_f64_e32 v0, v[0:1]
	v_cvt_f32_f64_e32 v1, v[2:3]
	global_store_b64 v[4:5], v[0:1], off
	global_load_b64 v[6:7], v[11:12], off offset:15264
	v_add_nc_u32_e32 v0, 0x3b00, v255
	v_add_co_u32 v4, vcc_lo, v4, s6
	s_wait_alu 0xfffd
	v_add_co_ci_u32_e32 v5, vcc_lo, s7, v5, vcc_lo
	ds_load_2addr_b64 v[0:3], v0 offset0:20 offset1:236
	s_wait_loadcnt_dscnt 0x0
	v_mul_f32_e32 v8, v1, v7
	v_mul_f32_e32 v7, v0, v7
	s_delay_alu instid0(VALU_DEP_2) | instskip(NEXT) | instid1(VALU_DEP_2)
	v_fmac_f32_e32 v8, v0, v6
	v_fma_f32 v6, v6, v1, -v7
	s_delay_alu instid0(VALU_DEP_2) | instskip(NEXT) | instid1(VALU_DEP_2)
	v_cvt_f64_f32_e32 v[0:1], v8
	v_cvt_f64_f32_e32 v[6:7], v6
	s_delay_alu instid0(VALU_DEP_2) | instskip(NEXT) | instid1(VALU_DEP_2)
	v_mul_f64_e32 v[0:1], s[2:3], v[0:1]
	v_mul_f64_e32 v[6:7], s[2:3], v[6:7]
	s_delay_alu instid0(VALU_DEP_2) | instskip(NEXT) | instid1(VALU_DEP_2)
	v_cvt_f32_f64_e32 v0, v[0:1]
	v_cvt_f32_f64_e32 v1, v[6:7]
	global_store_b64 v[4:5], v[0:1], off
	global_load_b64 v[0:1], v[11:12], off offset:16992
	s_wait_loadcnt 0x0
	v_mul_f32_e32 v6, v3, v1
	v_mul_f32_e32 v1, v2, v1
	s_delay_alu instid0(VALU_DEP_2) | instskip(NEXT) | instid1(VALU_DEP_2)
	v_fmac_f32_e32 v6, v2, v0
	v_fma_f32 v2, v0, v3, -v1
	s_delay_alu instid0(VALU_DEP_2) | instskip(NEXT) | instid1(VALU_DEP_2)
	v_cvt_f64_f32_e32 v[0:1], v6
	v_cvt_f64_f32_e32 v[2:3], v2
	s_delay_alu instid0(VALU_DEP_2) | instskip(NEXT) | instid1(VALU_DEP_2)
	v_mul_f64_e32 v[0:1], s[2:3], v[0:1]
	v_mul_f64_e32 v[2:3], s[2:3], v[2:3]
	s_delay_alu instid0(VALU_DEP_2) | instskip(NEXT) | instid1(VALU_DEP_2)
	v_cvt_f32_f64_e32 v0, v[0:1]
	v_cvt_f32_f64_e32 v1, v[2:3]
	v_add_co_u32 v2, vcc_lo, v4, s6
	s_wait_alu 0xfffd
	v_add_co_ci_u32_e32 v3, vcc_lo, s7, v5, vcc_lo
	global_store_b64 v[2:3], v[0:1], off
.LBB0_15:
	s_nop 0
	s_sendmsg sendmsg(MSG_DEALLOC_VGPRS)
	s_endpgm
	.section	.rodata,"a",@progbits
	.p2align	6, 0x0
	.amdhsa_kernel bluestein_single_fwd_len2160_dim1_sp_op_CI_CI
		.amdhsa_group_segment_fixed_size 17280
		.amdhsa_private_segment_fixed_size 420
		.amdhsa_kernarg_size 104
		.amdhsa_user_sgpr_count 2
		.amdhsa_user_sgpr_dispatch_ptr 0
		.amdhsa_user_sgpr_queue_ptr 0
		.amdhsa_user_sgpr_kernarg_segment_ptr 1
		.amdhsa_user_sgpr_dispatch_id 0
		.amdhsa_user_sgpr_private_segment_size 0
		.amdhsa_wavefront_size32 1
		.amdhsa_uses_dynamic_stack 0
		.amdhsa_enable_private_segment 1
		.amdhsa_system_sgpr_workgroup_id_x 1
		.amdhsa_system_sgpr_workgroup_id_y 0
		.amdhsa_system_sgpr_workgroup_id_z 0
		.amdhsa_system_sgpr_workgroup_info 0
		.amdhsa_system_vgpr_workitem_id 0
		.amdhsa_next_free_vgpr 256
		.amdhsa_next_free_sgpr 16
		.amdhsa_reserve_vcc 1
		.amdhsa_float_round_mode_32 0
		.amdhsa_float_round_mode_16_64 0
		.amdhsa_float_denorm_mode_32 3
		.amdhsa_float_denorm_mode_16_64 3
		.amdhsa_fp16_overflow 0
		.amdhsa_workgroup_processor_mode 1
		.amdhsa_memory_ordered 1
		.amdhsa_forward_progress 0
		.amdhsa_round_robin_scheduling 0
		.amdhsa_exception_fp_ieee_invalid_op 0
		.amdhsa_exception_fp_denorm_src 0
		.amdhsa_exception_fp_ieee_div_zero 0
		.amdhsa_exception_fp_ieee_overflow 0
		.amdhsa_exception_fp_ieee_underflow 0
		.amdhsa_exception_fp_ieee_inexact 0
		.amdhsa_exception_int_div_zero 0
	.end_amdhsa_kernel
	.text
.Lfunc_end0:
	.size	bluestein_single_fwd_len2160_dim1_sp_op_CI_CI, .Lfunc_end0-bluestein_single_fwd_len2160_dim1_sp_op_CI_CI
                                        ; -- End function
	.section	.AMDGPU.csdata,"",@progbits
; Kernel info:
; codeLenInByte = 38356
; NumSgprs: 18
; NumVgprs: 256
; ScratchSize: 420
; MemoryBound: 0
; FloatMode: 240
; IeeeMode: 1
; LDSByteSize: 17280 bytes/workgroup (compile time only)
; SGPRBlocks: 2
; VGPRBlocks: 31
; NumSGPRsForWavesPerEU: 18
; NumVGPRsForWavesPerEU: 256
; Occupancy: 4
; WaveLimiterHint : 1
; COMPUTE_PGM_RSRC2:SCRATCH_EN: 1
; COMPUTE_PGM_RSRC2:USER_SGPR: 2
; COMPUTE_PGM_RSRC2:TRAP_HANDLER: 0
; COMPUTE_PGM_RSRC2:TGID_X_EN: 1
; COMPUTE_PGM_RSRC2:TGID_Y_EN: 0
; COMPUTE_PGM_RSRC2:TGID_Z_EN: 0
; COMPUTE_PGM_RSRC2:TIDIG_COMP_CNT: 0
	.text
	.p2alignl 7, 3214868480
	.fill 96, 4, 3214868480
	.type	__hip_cuid_fb077a7d68a60222,@object ; @__hip_cuid_fb077a7d68a60222
	.section	.bss,"aw",@nobits
	.globl	__hip_cuid_fb077a7d68a60222
__hip_cuid_fb077a7d68a60222:
	.byte	0                               ; 0x0
	.size	__hip_cuid_fb077a7d68a60222, 1

	.ident	"AMD clang version 19.0.0git (https://github.com/RadeonOpenCompute/llvm-project roc-6.4.0 25133 c7fe45cf4b819c5991fe208aaa96edf142730f1d)"
	.section	".note.GNU-stack","",@progbits
	.addrsig
	.addrsig_sym __hip_cuid_fb077a7d68a60222
	.amdgpu_metadata
---
amdhsa.kernels:
  - .args:
      - .actual_access:  read_only
        .address_space:  global
        .offset:         0
        .size:           8
        .value_kind:     global_buffer
      - .actual_access:  read_only
        .address_space:  global
        .offset:         8
        .size:           8
        .value_kind:     global_buffer
      - .actual_access:  read_only
        .address_space:  global
        .offset:         16
        .size:           8
        .value_kind:     global_buffer
      - .actual_access:  read_only
        .address_space:  global
        .offset:         24
        .size:           8
        .value_kind:     global_buffer
      - .actual_access:  read_only
        .address_space:  global
        .offset:         32
        .size:           8
        .value_kind:     global_buffer
      - .offset:         40
        .size:           8
        .value_kind:     by_value
      - .address_space:  global
        .offset:         48
        .size:           8
        .value_kind:     global_buffer
      - .address_space:  global
        .offset:         56
        .size:           8
        .value_kind:     global_buffer
      - .address_space:  global
        .offset:         64
        .size:           8
        .value_kind:     global_buffer
      - .address_space:  global
        .offset:         72
        .size:           8
        .value_kind:     global_buffer
      - .offset:         80
        .size:           4
        .value_kind:     by_value
      - .address_space:  global
        .offset:         88
        .size:           8
        .value_kind:     global_buffer
      - .address_space:  global
        .offset:         96
        .size:           8
        .value_kind:     global_buffer
    .group_segment_fixed_size: 17280
    .kernarg_segment_align: 8
    .kernarg_segment_size: 104
    .language:       OpenCL C
    .language_version:
      - 2
      - 0
    .max_flat_workgroup_size: 60
    .name:           bluestein_single_fwd_len2160_dim1_sp_op_CI_CI
    .private_segment_fixed_size: 420
    .sgpr_count:     18
    .sgpr_spill_count: 0
    .symbol:         bluestein_single_fwd_len2160_dim1_sp_op_CI_CI.kd
    .uniform_work_group_size: 1
    .uses_dynamic_stack: false
    .vgpr_count:     256
    .vgpr_spill_count: 104
    .wavefront_size: 32
    .workgroup_processor_mode: 1
amdhsa.target:   amdgcn-amd-amdhsa--gfx1201
amdhsa.version:
  - 1
  - 2
...

	.end_amdgpu_metadata
